;; amdgpu-corpus repo=ROCm/rocFFT kind=compiled arch=gfx1030 opt=O3
	.text
	.amdgcn_target "amdgcn-amd-amdhsa--gfx1030"
	.amdhsa_code_object_version 6
	.protected	bluestein_single_back_len364_dim1_half_op_CI_CI ; -- Begin function bluestein_single_back_len364_dim1_half_op_CI_CI
	.globl	bluestein_single_back_len364_dim1_half_op_CI_CI
	.p2align	8
	.type	bluestein_single_back_len364_dim1_half_op_CI_CI,@function
bluestein_single_back_len364_dim1_half_op_CI_CI: ; @bluestein_single_back_len364_dim1_half_op_CI_CI
; %bb.0:
	s_load_dwordx4 s[0:3], s[4:5], 0x28
	v_mul_u32_u24_e32 v1, 0x4ed, v0
	v_mov_b32_e32 v11, 0
	v_lshrrev_b32_e32 v1, 16, v1
	v_add_nc_u32_e32 v10, s6, v1
	s_waitcnt lgkmcnt(0)
	v_cmp_gt_u64_e32 vcc_lo, s[0:1], v[10:11]
	s_and_saveexec_b32 s0, vcc_lo
	s_cbranch_execz .LBB0_23
; %bb.1:
	v_mul_lo_u16 v1, v1, 52
	s_clause 0x1
	s_load_dwordx2 s[18:19], s[4:5], 0x0
	s_load_dwordx2 s[6:7], s[4:5], 0x38
	v_sub_nc_u16 v0, v0, v1
	v_and_b32_e32 v28, 0xffff, v0
	v_cmp_gt_u16_e32 vcc_lo, 28, v0
	v_lshlrev_b32_e32 v26, 2, v28
	v_or_b32_e32 v27, 0xe0, v28
	s_and_saveexec_b32 s1, vcc_lo
	s_cbranch_execz .LBB0_3
; %bb.2:
	s_load_dwordx2 s[8:9], s[4:5], 0x18
	s_waitcnt lgkmcnt(0)
	s_load_dwordx4 s[8:11], s[8:9], 0x0
	s_clause 0x3
	global_load_dword v11, v26, s[18:19]
	global_load_dword v12, v26, s[18:19] offset:112
	global_load_dword v13, v26, s[18:19] offset:896
	global_load_dword v18, v26, s[18:19] offset:224
	s_waitcnt lgkmcnt(0)
	v_mad_u64_u32 v[0:1], null, s10, v10, 0
	v_mad_u64_u32 v[2:3], null, s8, v28, 0
	s_mul_i32 s0, s9, 0x70
	s_mul_hi_u32 s10, s8, 0x70
	s_add_i32 s10, s10, s0
	v_mad_u64_u32 v[4:5], null, s11, v10, v[1:2]
	v_mad_u64_u32 v[5:6], null, s8, v27, 0
	s_mul_i32 s11, s8, 0x70
	v_mad_u64_u32 v[7:8], null, s9, v28, v[3:4]
	v_mov_b32_e32 v1, v4
	v_mov_b32_e32 v4, v6
	v_lshlrev_b64 v[0:1], 2, v[0:1]
	v_mov_b32_e32 v3, v7
	v_mad_u64_u32 v[6:7], null, s9, v27, v[4:5]
	v_lshlrev_b64 v[2:3], 2, v[2:3]
	v_add_co_u32 v7, s0, s2, v0
	v_add_co_ci_u32_e64 v8, s0, s3, v1, s0
	v_add_co_u32 v0, s0, v7, v2
	v_add_co_ci_u32_e64 v1, s0, v8, v3, s0
	v_lshlrev_b64 v[2:3], 2, v[5:6]
	v_add_co_u32 v4, s0, v0, s11
	v_add_co_ci_u32_e64 v5, s0, s10, v1, s0
	global_load_dword v14, v[0:1], off
	v_add_co_u32 v2, s0, v7, v2
	v_add_co_ci_u32_e64 v3, s0, v8, v3, s0
	v_add_co_u32 v6, s0, v4, s11
	v_add_co_ci_u32_e64 v7, s0, s10, v5, s0
	s_clause 0x2
	global_load_dword v15, v[2:3], off
	global_load_dword v16, v[4:5], off
	;; [unrolled: 1-line block ×3, first 2 shown]
	v_add_co_u32 v0, s0, v6, s11
	v_add_co_ci_u32_e64 v1, s0, s10, v7, s0
	global_load_dword v19, v[0:1], off
	global_load_dword v20, v26, s[18:19] offset:336
	v_add_co_u32 v2, s0, v0, s11
	v_add_co_ci_u32_e64 v3, s0, s10, v1, s0
	v_add_co_u32 v4, s0, v2, s11
	v_add_co_ci_u32_e64 v5, s0, s10, v3, s0
	global_load_dword v21, v[2:3], off
	global_load_dword v22, v26, s[18:19] offset:448
	global_load_dword v23, v[4:5], off
	global_load_dword v24, v26, s[18:19] offset:560
	v_add_co_u32 v6, s0, v4, s11
	v_add_co_ci_u32_e64 v7, s0, s10, v5, s0
	v_add_co_u32 v8, s0, v6, s11
	v_add_co_ci_u32_e64 v9, s0, s10, v7, s0
	v_mad_u64_u32 v[0:1], null, 0xe0, s8, v[8:9]
	global_load_dword v6, v[6:7], off
	s_clause 0x1
	global_load_dword v7, v26, s[18:19] offset:672
	global_load_dword v25, v26, s[18:19] offset:784
	global_load_dword v8, v[8:9], off
	global_load_dword v9, v26, s[18:19] offset:1008
	v_mad_u64_u32 v[1:2], null, 0xe0, s9, v[1:2]
	v_add_co_u32 v2, s0, v0, s11
	global_load_dword v29, v[0:1], off
	v_add_co_ci_u32_e64 v3, s0, s10, v1, s0
	v_add_co_u32 v0, s0, v2, s11
	v_add_co_ci_u32_e64 v1, s0, s10, v3, s0
	v_add_co_u32 v4, s0, v0, s11
	v_add_co_ci_u32_e64 v5, s0, s10, v1, s0
	global_load_dword v2, v[2:3], off
	global_load_dword v3, v26, s[18:19] offset:1120
	global_load_dword v0, v[0:1], off
	global_load_dword v1, v[4:5], off
	s_clause 0x1
	global_load_dword v4, v26, s[18:19] offset:1232
	global_load_dword v5, v26, s[18:19] offset:1344
	s_waitcnt vmcnt(21)
	v_lshrrev_b32_e32 v30, 16, v14
	v_mul_f16_sdwa v31, v11, v14 dst_sel:DWORD dst_unused:UNUSED_PAD src0_sel:WORD_1 src1_sel:DWORD
	v_mul_f16_sdwa v34, v11, v30 dst_sel:DWORD dst_unused:UNUSED_PAD src0_sel:WORD_1 src1_sel:DWORD
	v_fma_f16 v30, v11, v30, -v31
	s_waitcnt vmcnt(20)
	v_lshrrev_b32_e32 v32, 16, v15
	s_waitcnt vmcnt(19)
	v_lshrrev_b32_e32 v31, 16, v16
	v_mul_f16_sdwa v35, v12, v16 dst_sel:DWORD dst_unused:UNUSED_PAD src0_sel:WORD_1 src1_sel:DWORD
	v_mul_f16_sdwa v33, v13, v15 dst_sel:DWORD dst_unused:UNUSED_PAD src0_sel:WORD_1 src1_sel:DWORD
	v_fmac_f16_e32 v34, v11, v14
	v_mul_f16_sdwa v36, v13, v32 dst_sel:DWORD dst_unused:UNUSED_PAD src0_sel:WORD_1 src1_sel:DWORD
	v_mul_f16_sdwa v11, v12, v31 dst_sel:DWORD dst_unused:UNUSED_PAD src0_sel:WORD_1 src1_sel:DWORD
	v_fma_f16 v14, v12, v31, -v35
	s_waitcnt vmcnt(18)
	v_lshrrev_b32_e32 v31, 16, v17
	v_fma_f16 v32, v13, v32, -v33
	v_mul_f16_sdwa v33, v18, v17 dst_sel:DWORD dst_unused:UNUSED_PAD src0_sel:WORD_1 src1_sel:DWORD
	v_fmac_f16_e32 v11, v12, v16
	s_waitcnt vmcnt(17)
	v_lshrrev_b32_e32 v16, 16, v19
	v_mul_f16_sdwa v12, v18, v31 dst_sel:DWORD dst_unused:UNUSED_PAD src0_sel:WORD_1 src1_sel:DWORD
	v_fmac_f16_e32 v36, v13, v15
	v_pack_b32_f16 v13, v34, v30
	v_fma_f16 v15, v18, v31, -v33
	s_waitcnt vmcnt(16)
	v_mul_f16_sdwa v30, v20, v19 dst_sel:DWORD dst_unused:UNUSED_PAD src0_sel:WORD_1 src1_sel:DWORD
	v_pack_b32_f16 v11, v11, v14
	v_fmac_f16_e32 v12, v18, v17
	v_mul_f16_sdwa v14, v20, v16 dst_sel:DWORD dst_unused:UNUSED_PAD src0_sel:WORD_1 src1_sel:DWORD
	s_waitcnt vmcnt(15)
	v_lshrrev_b32_e32 v17, 16, v21
	v_fma_f16 v16, v20, v16, -v30
	ds_write2_b32 v26, v13, v11 offset1:28
	v_pack_b32_f16 v11, v12, v15
	v_fmac_f16_e32 v14, v20, v19
	s_waitcnt vmcnt(13)
	v_lshrrev_b32_e32 v13, 16, v23
	s_waitcnt vmcnt(12)
	v_mul_f16_sdwa v15, v24, v23 dst_sel:DWORD dst_unused:UNUSED_PAD src0_sel:WORD_1 src1_sel:DWORD
	v_mul_f16_sdwa v18, v22, v21 dst_sel:DWORD dst_unused:UNUSED_PAD src0_sel:WORD_1 src1_sel:DWORD
	;; [unrolled: 1-line block ×3, first 2 shown]
	v_pack_b32_f16 v14, v14, v16
	v_mul_f16_sdwa v16, v24, v13 dst_sel:DWORD dst_unused:UNUSED_PAD src0_sel:WORD_1 src1_sel:DWORD
	v_fma_f16 v13, v24, v13, -v15
	s_waitcnt vmcnt(11)
	v_lshrrev_b32_e32 v15, 16, v6
	v_fma_f16 v17, v22, v17, -v18
	v_fmac_f16_e32 v12, v22, v21
	s_waitcnt vmcnt(10)
	v_mul_f16_sdwa v18, v7, v6 dst_sel:DWORD dst_unused:UNUSED_PAD src0_sel:WORD_1 src1_sel:DWORD
	ds_write2_b32 v26, v11, v14 offset0:56 offset1:84
	s_waitcnt vmcnt(8)
	v_lshrrev_b32_e32 v11, 16, v8
	v_mul_f16_sdwa v14, v7, v15 dst_sel:DWORD dst_unused:UNUSED_PAD src0_sel:WORD_1 src1_sel:DWORD
	v_pack_b32_f16 v12, v12, v17
	v_mul_f16_sdwa v17, v25, v8 dst_sel:DWORD dst_unused:UNUSED_PAD src0_sel:WORD_1 src1_sel:DWORD
	v_fmac_f16_e32 v16, v24, v23
	v_mul_f16_sdwa v19, v25, v11 dst_sel:DWORD dst_unused:UNUSED_PAD src0_sel:WORD_1 src1_sel:DWORD
	v_fma_f16 v15, v7, v15, -v18
	v_fmac_f16_e32 v14, v7, v6
	v_fma_f16 v6, v25, v11, -v17
	v_pack_b32_f16 v11, v16, v13
	v_fmac_f16_e32 v19, v25, v8
	v_pack_b32_f16 v31, v36, v32
	v_pack_b32_f16 v13, v14, v15
	s_waitcnt vmcnt(6)
	v_lshrrev_b32_e32 v7, 16, v29
	v_mul_f16_sdwa v8, v9, v29 dst_sel:DWORD dst_unused:UNUSED_PAD src0_sel:WORD_1 src1_sel:DWORD
	v_pack_b32_f16 v6, v19, v6
	v_mul_f16_sdwa v14, v9, v7 dst_sel:DWORD dst_unused:UNUSED_PAD src0_sel:WORD_1 src1_sel:DWORD
	v_fma_f16 v7, v9, v7, -v8
	s_waitcnt vmcnt(5)
	v_lshrrev_b32_e32 v8, 16, v2
	s_waitcnt vmcnt(4)
	v_mul_f16_sdwa v15, v3, v2 dst_sel:DWORD dst_unused:UNUSED_PAD src0_sel:WORD_1 src1_sel:DWORD
	v_fmac_f16_e32 v14, v9, v29
	s_waitcnt vmcnt(3)
	v_lshrrev_b32_e32 v9, 16, v0
	s_waitcnt vmcnt(2)
	v_lshrrev_b32_e32 v16, 16, v1
	v_mul_f16_sdwa v17, v3, v8 dst_sel:DWORD dst_unused:UNUSED_PAD src0_sel:WORD_1 src1_sel:DWORD
	v_fma_f16 v8, v3, v8, -v15
	s_waitcnt vmcnt(1)
	v_mul_f16_sdwa v15, v4, v0 dst_sel:DWORD dst_unused:UNUSED_PAD src0_sel:WORD_1 src1_sel:DWORD
	v_mul_f16_sdwa v18, v4, v9 dst_sel:DWORD dst_unused:UNUSED_PAD src0_sel:WORD_1 src1_sel:DWORD
	s_waitcnt vmcnt(0)
	v_mul_f16_sdwa v19, v5, v16 dst_sel:DWORD dst_unused:UNUSED_PAD src0_sel:WORD_1 src1_sel:DWORD
	v_mul_f16_sdwa v20, v5, v1 dst_sel:DWORD dst_unused:UNUSED_PAD src0_sel:WORD_1 src1_sel:DWORD
	v_fmac_f16_e32 v17, v3, v2
	v_fma_f16 v2, v4, v9, -v15
	v_fmac_f16_e32 v18, v4, v0
	v_fmac_f16_e32 v19, v5, v1
	v_fma_f16 v0, v5, v16, -v20
	v_pack_b32_f16 v1, v14, v7
	v_pack_b32_f16 v3, v17, v8
	;; [unrolled: 1-line block ×3, first 2 shown]
	v_add_nc_u32_e32 v4, 0x400, v26
	v_pack_b32_f16 v0, v19, v0
	ds_write2_b32 v26, v12, v11 offset0:112 offset1:140
	ds_write2_b32 v26, v13, v6 offset0:168 offset1:196
	;; [unrolled: 1-line block ×4, first 2 shown]
	ds_write_b32 v26, v0 offset:1344
.LBB0_3:
	s_or_b32 exec_lo, exec_lo, s1
	s_clause 0x1
	s_load_dwordx2 s[0:1], s[4:5], 0x20
	s_load_dwordx2 s[2:3], s[4:5], 0x8
	v_mov_b32_e32 v4, 0
	s_waitcnt lgkmcnt(0)
	s_barrier
	buffer_gl0_inv
                                        ; implicit-def: $vgpr17
                                        ; implicit-def: $vgpr1
                                        ; implicit-def: $vgpr3
                                        ; implicit-def: $vgpr7
                                        ; implicit-def: $vgpr9
                                        ; implicit-def: $vgpr16
	s_and_saveexec_b32 s4, vcc_lo
	s_cbranch_execz .LBB0_5
; %bb.4:
	v_add_nc_u32_e32 v0, 0x400, v26
	ds_read2_b32 v[4:5], v26 offset1:28
	ds_read2_b32 v[15:16], v26 offset0:56 offset1:84
	ds_read2_b32 v[8:9], v26 offset0:112 offset1:140
	;; [unrolled: 1-line block ×5, first 2 shown]
	ds_read_b32 v17, v26 offset:1344
.LBB0_5:
	s_or_b32 exec_lo, exec_lo, s4
	s_waitcnt lgkmcnt(0)
	v_pk_add_f16 v13, v5, v17 neg_lo:[0,1] neg_hi:[0,1]
	v_pk_add_f16 v38, v17, v5
	v_mov_b32_e32 v14, 0xbb7b
	v_mov_b32_e32 v18, 0xb94e
	v_pk_add_f16 v30, v15, v1 neg_lo:[0,1] neg_hi:[0,1]
	v_mul_f16_e32 v20, 0xba95, v13
	v_lshrrev_b32_e32 v41, 16, v38
	v_mul_f16_sdwa v23, v13, v14 dst_sel:DWORD dst_unused:UNUSED_PAD src0_sel:WORD_1 src1_sel:DWORD
	v_mov_b32_e32 v24, 0x394e
	v_mul_f16_sdwa v36, v13, v18 dst_sel:DWORD dst_unused:UNUSED_PAD src0_sel:WORD_1 src1_sel:DWORD
	v_pk_add_f16 v45, v1, v15
	v_fma_f16 v12, v41, 0x388b, -v20
	v_fmamk_f16 v22, v38, 0xb5ac, v23
	v_mul_f16_sdwa v24, v30, v24 dst_sel:DWORD dst_unused:UNUSED_PAD src0_sel:WORD_1 src1_sel:DWORD
	v_mov_b32_e32 v34, 0x3bf1
	v_mov_b32_e32 v33, 0x3770
	v_pk_add_f16 v35, v16, v0 neg_lo:[0,1] neg_hi:[0,1]
	v_mov_b32_e32 v25, 0xbbf1
	v_add_f16_sdwa v29, v12, v4 dst_sel:DWORD dst_unused:UNUSED_PAD src0_sel:DWORD src1_sel:WORD_1
	v_fmamk_f16 v12, v38, 0xb9fd, v36
	v_add_f16_e32 v31, v22, v4
	v_mov_b32_e32 v71, 0xba95
	v_fmamk_f16 v40, v45, 0xb9fd, v24
	v_mul_f16_sdwa v39, v30, v34 dst_sel:DWORD dst_unused:UNUSED_PAD src0_sel:WORD_1 src1_sel:DWORD
	v_pk_add_f16 v46, v0, v16
	v_mul_f16_sdwa v37, v35, v33 dst_sel:DWORD dst_unused:UNUSED_PAD src0_sel:WORD_1 src1_sel:DWORD
	v_pk_add_f16 v76, v8, v3 neg_lo:[0,1] neg_hi:[0,1]
	v_mov_b32_e32 v11, 0xb770
	v_add_f16_e32 v12, v12, v4
	v_add_f16_e32 v31, v40, v31
	v_fmamk_f16 v43, v45, 0x2fb7, v39
	v_fmamk_f16 v44, v46, 0x3b15, v37
	v_mul_f16_sdwa v42, v35, v71 dst_sel:DWORD dst_unused:UNUSED_PAD src0_sel:WORD_1 src1_sel:DWORD
	v_pk_add_f16 v47, v3, v8
	v_mul_f16_sdwa v40, v76, v25 dst_sel:DWORD dst_unused:UNUSED_PAD src0_sel:WORD_1 src1_sel:DWORD
	v_mov_b32_e32 v48, 0x33a8
	v_mul_f16_sdwa v19, v13, v11 dst_sel:DWORD dst_unused:UNUSED_PAD src0_sel:WORD_1 src1_sel:DWORD
	v_add_f16_e32 v12, v43, v12
	v_add_f16_e32 v31, v44, v31
	v_fmamk_f16 v44, v46, 0x388b, v42
	v_fmamk_f16 v49, v47, 0x2fb7, v40
	v_mul_f16_sdwa v43, v76, v48 dst_sel:DWORD dst_unused:UNUSED_PAD src0_sel:WORD_1 src1_sel:DWORD
	v_pk_add_f16 v80, v9, v2 neg_lo:[0,1] neg_hi:[0,1]
	v_fmamk_f16 v11, v38, 0x3b15, v19
	v_mul_f16_sdwa v22, v30, v71 dst_sel:DWORD dst_unused:UNUSED_PAD src0_sel:WORD_1 src1_sel:DWORD
	v_add_f16_e32 v12, v44, v12
	v_add_f16_e32 v31, v49, v31
	v_fmamk_f16 v49, v47, 0xbbc4, v43
	v_pk_add_f16 v55, v2, v9
	v_mul_f16_sdwa v44, v80, v48 dst_sel:DWORD dst_unused:UNUSED_PAD src0_sel:WORD_1 src1_sel:DWORD
	v_mul_f16_sdwa v48, v80, v33 dst_sel:DWORD dst_unused:UNUSED_PAD src0_sel:WORD_1 src1_sel:DWORD
	v_mov_b32_e32 v67, 0x3a95
	v_pk_add_f16 v89, v6, v7 neg_lo:[0,1] neg_hi:[0,1]
	v_add_f16_e32 v11, v11, v4
	v_mul_f16_sdwa v21, v13, v25 dst_sel:DWORD dst_unused:UNUSED_PAD src0_sel:WORD_1 src1_sel:DWORD
	v_mov_b32_e32 v32, 0xb3a8
	v_fmamk_f16 v51, v45, 0x388b, v22
	v_add_f16_e32 v12, v49, v12
	v_fmamk_f16 v49, v55, 0xbbc4, v44
	v_fmamk_f16 v52, v55, 0x3b15, v48
	v_pk_add_f16 v59, v7, v6
	v_mul_f16_sdwa v50, v89, v67 dst_sel:DWORD dst_unused:UNUSED_PAD src0_sel:WORD_1 src1_sel:DWORD
	v_mul_f16_sdwa v56, v89, v14 dst_sel:DWORD dst_unused:UNUSED_PAD src0_sel:WORD_1 src1_sel:DWORD
	v_lshrrev_b32_e32 v85, 16, v45
	v_add_f16_e32 v31, v49, v31
	v_add_f16_e32 v52, v52, v12
	v_fmamk_f16 v12, v59, 0x388b, v50
	v_fmamk_f16 v53, v59, 0xb5ac, v56
	v_mul_f16_e32 v49, 0xbb7b, v30
	v_add_f16_e32 v61, v51, v11
	v_fmamk_f16 v51, v38, 0x2fb7, v21
	v_mul_f16_e32 v62, 0xbbf1, v13
	v_mul_f16_sdwa v57, v30, v32 dst_sel:DWORD dst_unused:UNUSED_PAD src0_sel:WORD_1 src1_sel:DWORD
	v_add_f16_e32 v12, v12, v31
	v_add_f16_e32 v11, v53, v52
	v_fma_f16 v31, v85, 0xb5ac, -v49
	v_fma_f16 v52, v41, 0x2fb7, -v62
	v_mul_f16_e32 v63, 0xb3a8, v30
	v_add_f16_e32 v51, v51, v4
	v_fmamk_f16 v53, v45, 0xbbc4, v57
	v_mul_f16_e32 v72, 0xbb7b, v13
	v_add_f16_sdwa v52, v52, v4 dst_sel:DWORD dst_unused:UNUSED_PAD src0_sel:DWORD src1_sel:WORD_1
	v_fma_f16 v54, v85, 0xbbc4, -v63
	v_add_f16_e32 v29, v31, v29
	v_add_f16_e32 v31, v53, v51
	v_fma_f16 v51, v41, 0xb5ac, -v72
	v_mul_f16_e32 v73, 0x394e, v30
	v_mul_f16_sdwa v92, v13, v32 dst_sel:DWORD dst_unused:UNUSED_PAD src0_sel:WORD_1 src1_sel:DWORD
	v_mul_f16_e32 v87, 0xb94e, v13
	v_add_f16_e32 v64, v54, v52
	v_add_f16_sdwa v51, v51, v4 dst_sel:DWORD dst_unused:UNUSED_PAD src0_sel:DWORD src1_sel:WORD_1
	v_fma_f16 v53, v85, 0xb9fd, -v73
	v_fmamk_f16 v54, v38, 0xbbc4, v92
	v_mul_f16_sdwa v93, v30, v33 dst_sel:DWORD dst_unused:UNUSED_PAD src0_sel:WORD_1 src1_sel:DWORD
	v_fma_f16 v52, v41, 0xb9fd, -v87
	v_mul_f16_e32 v88, 0x3bf1, v30
	v_add_f16_e32 v65, v53, v51
	v_add_f16_e32 v51, v54, v4
	v_fmamk_f16 v53, v45, 0x3b15, v93
	v_add_f16_sdwa v52, v52, v4 dst_sel:DWORD dst_unused:UNUSED_PAD src0_sel:DWORD src1_sel:WORD_1
	v_fma_f16 v58, v85, 0x2fb7, -v88
	v_pk_mul_f16 v54, 0x3b15388b, v38
	v_mul_f16_e32 v98, 0xb3a8, v13
	v_add_f16_e32 v69, v53, v51
	v_mul_f16_sdwa v51, v35, v25 dst_sel:DWORD dst_unused:UNUSED_PAD src0_sel:WORD_1 src1_sel:DWORD
	v_lshrrev_b32_e32 v94, 16, v46
	v_mul_f16_e32 v60, 0xb3a8, v35
	v_mov_b32_e32 v25, 0x3b7b
	v_add_f16_e32 v66, v58, v52
	v_pk_mul_f16 v58, 0x388bb5ac, v45
	v_pk_fma_f16 v52, 0xba95b770, v13, v54 op_sel:[0,0,1] op_sel_hi:[1,1,0] neg_lo:[0,1,0] neg_hi:[0,1,0]
	v_pk_fma_f16 v54, 0xba95b770, v13, v54 op_sel:[0,0,1] op_sel_hi:[1,1,0]
	v_fma_f16 v13, v41, 0xbbc4, -v98
	v_mul_f16_e32 v99, 0x3770, v30
	v_fma_f16 v75, v94, 0xbbc4, -v60
	v_mul_f16_sdwa v68, v35, v25 dst_sel:DWORD dst_unused:UNUSED_PAD src0_sel:WORD_1 src1_sel:DWORD
	v_pk_fma_f16 v53, 0xbb7bba95, v30, v58 op_sel:[0,0,1] op_sel_hi:[1,1,0] neg_lo:[0,1,0] neg_hi:[0,1,0]
	v_add_f16_sdwa v13, v13, v4 dst_sel:DWORD dst_unused:UNUSED_PAD src0_sel:DWORD src1_sel:WORD_1
	v_fma_f16 v70, v85, 0x3b15, -v99
	v_fmamk_f16 v74, v46, 0x2fb7, v51
	v_pk_fma_f16 v58, 0xbb7bba95, v30, v58 op_sel:[0,0,1] op_sel_hi:[1,1,0]
	v_add_f16_e32 v29, v75, v29
	v_mul_f16_e32 v75, 0x3b7b, v35
	v_fmamk_f16 v30, v46, 0xb5ac, v68
	v_mul_f16_e32 v84, 0x3770, v35
	v_mul_f16_e32 v96, 0xba95, v35
	v_add_f16_e32 v13, v70, v13
	v_add_f16_e32 v25, v74, v61
	v_mul_f16_sdwa v100, v35, v18 dst_sel:DWORD dst_unused:UNUSED_PAD src0_sel:WORD_1 src1_sel:DWORD
	v_fma_f16 v61, v94, 0xb5ac, -v75
	v_add_f16_e32 v30, v30, v31
	v_fma_f16 v31, v94, 0x3b15, -v84
	v_fma_f16 v70, v94, 0x388b, -v96
	v_mul_f16_e32 v105, 0xb94e, v35
	v_fmamk_f16 v74, v46, 0xb9fd, v100
	v_add_f16_e32 v77, v61, v64
	v_add_f16_e32 v31, v31, v65
	;; [unrolled: 1-line block ×3, first 2 shown]
	v_pk_mul_f16 v65, 0x2fb7bbc4, v46
	v_fma_f16 v70, v94, 0xb9fd, -v105
	v_mul_f16_sdwa v61, v76, v14 dst_sel:DWORD dst_unused:UNUSED_PAD src0_sel:WORD_1 src1_sel:DWORD
	v_lshrrev_b32_e32 v97, 16, v47
	v_mul_f16_e32 v66, 0x394e, v76
	v_add_f16_e32 v69, v74, v69
	v_pk_fma_f16 v64, 0xb3a8bbf1, v35, v65 op_sel:[0,0,1] op_sel_hi:[1,1,0] neg_lo:[0,1,0] neg_hi:[0,1,0]
	v_pk_fma_f16 v65, 0xb3a8bbf1, v35, v65 op_sel:[0,0,1] op_sel_hi:[1,1,0]
	v_add_f16_e32 v13, v70, v13
	v_fmamk_f16 v35, v47, 0xb5ac, v61
	v_fma_f16 v74, v97, 0xb9fd, -v66
	v_mul_f16_sdwa v70, v76, v33 dst_sel:DWORD dst_unused:UNUSED_PAD src0_sel:WORD_1 src1_sel:DWORD
	v_mul_f16_e32 v83, 0x3770, v76
	v_mul_f16_e32 v90, 0xbbf1, v76
	v_add_f16_e32 v25, v35, v25
	v_add_f16_e32 v29, v74, v29
	v_fmamk_f16 v33, v47, 0x3b15, v70
	v_fma_f16 v35, v97, 0x3b15, -v83
	v_fma_f16 v74, v97, 0x2fb7, -v90
	v_mul_f16_e32 v101, 0x33a8, v76
	v_mul_f16_sdwa v106, v76, v67 dst_sel:DWORD dst_unused:UNUSED_PAD src0_sel:WORD_1 src1_sel:DWORD
	v_add_f16_e32 v30, v33, v30
	v_add_f16_e32 v33, v35, v77
	;; [unrolled: 1-line block ×3, first 2 shown]
	v_fma_f16 v35, v97, 0xbbc4, -v101
	v_fmamk_f16 v74, v47, 0x388b, v106
	v_mul_f16_e32 v108, 0x3a95, v76
	v_pk_mul_f16 v77, 0xb5acb9fd, v47
	v_lshrrev_b32_e32 v102, 16, v55
	v_add_f16_e32 v35, v35, v78
	v_add_f16_e32 v79, v74, v69
	v_fma_f16 v81, v97, 0x388b, -v108
	v_mul_f16_e32 v74, 0x3bf1, v80
	v_mul_f16_sdwa v78, v80, v71 dst_sel:DWORD dst_unused:UNUSED_PAD src0_sel:WORD_1 src1_sel:DWORD
	v_mul_f16_sdwa v67, v80, v18 dst_sel:DWORD dst_unused:UNUSED_PAD src0_sel:WORD_1 src1_sel:DWORD
	v_pk_fma_f16 v69, 0x394ebb7b, v76, v77 op_sel:[0,0,1] op_sel_hi:[1,1,0] neg_lo:[0,1,0] neg_hi:[0,1,0]
	v_pk_fma_f16 v71, 0x394ebb7b, v76, v77 op_sel:[0,0,1] op_sel_hi:[1,1,0]
	v_add_f16_e32 v13, v81, v13
	v_fma_f16 v76, v102, 0x2fb7, -v74
	v_fmamk_f16 v77, v55, 0x388b, v78
	v_mul_f16_e32 v81, 0xba95, v80
	v_mul_f16_e32 v95, 0x33a8, v80
	v_fmamk_f16 v82, v55, 0xb9fd, v67
	v_add_f16_e32 v29, v76, v29
	v_add_f16_e32 v104, v77, v30
	v_fma_f16 v30, v102, 0x388b, -v81
	v_fma_f16 v76, v102, 0xbbc4, -v95
	v_mul_f16_sdwa v109, v80, v14 dst_sel:DWORD dst_unused:UNUSED_PAD src0_sel:WORD_1 src1_sel:DWORD
	v_add_f16_e32 v25, v82, v25
	v_mul_f16_e32 v103, 0x3770, v80
	v_add_f16_sdwa v82, v54, v4 dst_sel:DWORD dst_unused:UNUSED_PAD src0_sel:WORD_1 src1_sel:DWORD
	v_add_f16_e32 v33, v30, v33
	v_add_f16_e32 v114, v76, v31
	v_fmamk_f16 v30, v55, 0xb5ac, v109
	v_pk_mul_f16 v31, 0xb9fd2fb7, v55
	v_mul_f16_e32 v111, 0xbb7b, v80
	v_mul_f16_sdwa v76, v89, v32 dst_sel:DWORD dst_unused:UNUSED_PAD src0_sel:WORD_1 src1_sel:DWORD
	v_fma_f16 v77, v102, 0x3b15, -v103
	v_add_f16_sdwa v14, v58, v82 dst_sel:DWORD dst_unused:UNUSED_PAD src0_sel:WORD_1 src1_sel:DWORD
	v_add_f16_e32 v115, v30, v79
	v_pk_fma_f16 v79, 0x3bf1b94e, v80, v31 op_sel:[0,0,1] op_sel_hi:[1,1,0]
	v_fma_f16 v30, v102, 0xb5ac, -v111
	v_fmamk_f16 v32, v59, 0xbbc4, v76
	v_pk_fma_f16 v80, 0x3bf1b94e, v80, v31 op_sel:[0,0,1] op_sel_hi:[1,1,0] neg_lo:[0,1,0] neg_hi:[0,1,0]
	v_lshrrev_b32_e32 v107, 16, v59
	v_mul_f16_e32 v82, 0x3770, v89
	v_add_f16_sdwa v31, v52, v4 dst_sel:DWORD dst_unused:UNUSED_PAD src0_sel:DWORD src1_sel:WORD_1
	v_add_f16_e32 v35, v77, v35
	v_mul_f16_sdwa v77, v89, v18 dst_sel:DWORD dst_unused:UNUSED_PAD src0_sel:WORD_1 src1_sel:DWORD
	v_add_f16_e32 v18, v30, v13
	v_add_f16_e32 v30, v32, v25
	v_mul_f16_e32 v91, 0xb94e, v89
	v_fma_f16 v32, v107, 0x3b15, -v82
	v_add_f16_e32 v110, v53, v31
	v_add_f16_sdwa v14, v65, v14 dst_sel:DWORD dst_unused:UNUSED_PAD src0_sel:WORD_1 src1_sel:DWORD
	v_fmamk_f16 v13, v59, 0xb9fd, v77
	v_fma_f16 v112, v107, 0xb9fd, -v91
	v_add_f16_e32 v31, v32, v29
	v_add_f16_e32 v29, v64, v110
	v_add_f16_sdwa v14, v71, v14 dst_sel:DWORD dst_unused:UNUSED_PAD src0_sel:WORD_1 src1_sel:DWORD
	v_pk_mul_f16 v25, 0xbbc43b15, v59
	v_add_f16_e32 v13, v13, v104
	v_mul_f16_e32 v104, 0x3a95, v89
	v_add_f16_e32 v33, v112, v33
	v_mul_f16_e32 v110, 0xbb7b, v89
	v_mul_f16_e32 v113, 0x3bf1, v89
	v_add_f16_e32 v29, v69, v29
	v_mul_f16_sdwa v112, v89, v34 dst_sel:DWORD dst_unused:UNUSED_PAD src0_sel:WORD_1 src1_sel:DWORD
	v_add_f16_sdwa v14, v79, v14 dst_sel:DWORD dst_unused:UNUSED_PAD src0_sel:WORD_1 src1_sel:DWORD
	v_pk_fma_f16 v86, 0x3770b3a8, v89, v25 op_sel:[0,0,1] op_sel_hi:[1,1,0]
	v_fma_f16 v32, v107, 0x388b, -v104
	v_fma_f16 v116, v107, 0xb5ac, -v110
	v_pk_fma_f16 v89, 0x3770b3a8, v89, v25 op_sel:[0,0,1] op_sel_hi:[1,1,0] neg_lo:[0,1,0] neg_hi:[0,1,0]
	v_fma_f16 v25, v107, 0x2fb7, -v113
	v_add_f16_e32 v29, v80, v29
	v_fmamk_f16 v117, v59, 0x2fb7, v112
	v_add_f16_sdwa v14, v86, v14 dst_sel:DWORD dst_unused:UNUSED_PAD src0_sel:WORD_1 src1_sel:DWORD
	v_add_f16_e32 v34, v32, v114
	v_add_f16_e32 v35, v116, v35
	v_add_f16_e32 v25, v25, v18
	v_add_f16_e32 v32, v89, v29
	v_add_f16_e32 v18, v117, v115
	v_mul_lo_u16 v29, v28, 13
	s_barrier
	buffer_gl0_inv
	s_and_saveexec_b32 s4, vcc_lo
	s_cbranch_execz .LBB0_7
; %bb.6:
	v_mul_f16_e32 v118, 0xbbc4, v41
	v_mul_f16_e32 v115, 0x3b15, v38
	;; [unrolled: 1-line block ×5, first 2 shown]
	v_add_f16_e32 v98, v98, v118
	v_mul_f16_e32 v118, 0x3b15, v85
	v_mul_f16_e32 v38, 0xbbc4, v38
	;; [unrolled: 1-line block ×3, first 2 shown]
	v_sub_f16_e32 v23, v120, v23
	v_add_f16_sdwa v98, v98, v4 dst_sel:DWORD dst_unused:UNUSED_PAD src0_sel:DWORD src1_sel:WORD_1
	v_add_f16_e32 v99, v99, v118
	v_sub_f16_e32 v38, v38, v92
	v_add_f16_e32 v105, v105, v124
	v_mul_f16_e32 v124, 0xb9fd, v45
	v_mul_f16_e32 v116, 0x388b, v41
	v_add_f16_e32 v98, v99, v98
	v_mul_f16_e32 v99, 0x3b15, v45
	v_add_f16_e32 v38, v38, v4
	v_mul_f16_e32 v119, 0x2fb7, v41
	v_mul_f16_e32 v121, 0xb5ac, v41
	v_add_f16_e32 v98, v105, v98
	v_sub_f16_e32 v93, v99, v93
	v_mul_f16_e32 v99, 0x388b, v97
	v_mul_f16_e32 v105, 0xb9fd, v46
	;; [unrolled: 1-line block ×3, first 2 shown]
	v_add_f16_e32 v23, v23, v4
	v_add_f16_e32 v38, v93, v38
	;; [unrolled: 1-line block ×3, first 2 shown]
	v_mul_f16_e32 v93, 0xb5ac, v102
	v_sub_f16_e32 v100, v105, v100
	v_mul_f16_e32 v105, 0x388b, v47
	v_sub_f16_e32 v24, v124, v24
	v_add_f16_e32 v98, v99, v98
	v_add_f16_e32 v93, v111, v93
	v_mul_f16_e32 v99, 0xbbc4, v94
	v_add_f16_e32 v38, v100, v38
	v_sub_f16_e32 v100, v105, v106
	v_mul_f16_e32 v105, 0xb5ac, v94
	v_mul_f16_e32 v106, 0x3b15, v46
	v_add_f16_e32 v93, v93, v98
	v_mul_f16_e32 v98, 0x3b15, v94
	v_mul_f16_e32 v94, 0x388b, v94
	;; [unrolled: 1-line block ×6, first 2 shown]
	v_add_f16_e32 v41, v87, v41
	v_add_f16_e32 v94, v96, v94
	v_mul_f16_e32 v96, 0x2fb7, v47
	v_add_f16_e32 v23, v24, v23
	v_sub_f16_e32 v24, v106, v37
	v_add_f16_e32 v37, v62, v119
	v_alignbit_b32 v114, v4, v4, 16
	v_add_f16_e32 v85, v88, v85
	v_add_f16_sdwa v41, v41, v4 dst_sel:DWORD dst_unused:UNUSED_PAD src0_sel:DWORD src1_sel:WORD_1
	v_sub_f16_e32 v36, v122, v36
	v_mul_f16_e32 v122, 0xbbc4, v55
	v_add_f16_e32 v23, v24, v23
	v_sub_f16_e32 v24, v96, v40
	v_add_f16_sdwa v37, v37, v4 dst_sel:DWORD dst_unused:UNUSED_PAD src0_sel:DWORD src1_sel:WORD_1
	v_add_f16_e32 v40, v63, v126
	v_mul_f16_e32 v125, 0xbbc4, v45
	v_add_f16_e32 v38, v100, v38
	v_mul_f16_e32 v100, 0xb5ac, v55
	;; [unrolled: 2-line block ×4, first 2 shown]
	v_add_f16_e32 v23, v24, v23
	v_sub_f16_e32 v24, v122, v44
	v_add_f16_e32 v37, v40, v37
	v_add_f16_e32 v40, v75, v105
	v_sub_f16_e32 v21, v117, v21
	v_pk_add_f16 v5, v5, v114 op_sel:[0,1] op_sel_hi:[1,0]
	v_mul_f16_e32 v111, 0xb5ac, v46
	v_mul_f16_e32 v87, 0x2fb7, v107
	v_sub_f16_e32 v100, v100, v109
	v_add_f16_e32 v23, v24, v23
	v_sub_f16_e32 v24, v121, v50
	v_add_f16_e32 v37, v40, v37
	v_add_f16_e32 v40, v83, v85
	;; [unrolled: 1-line block ×3, first 2 shown]
	v_sub_f16_e32 v44, v125, v57
	v_add_f16_e32 v20, v20, v116
	v_pk_add_f16 v5, v15, v5
	v_mul_f16_e32 v123, 0x388b, v45
	v_mul_f16_e32 v45, 0x2fb7, v45
	v_add_f16_e32 v87, v113, v87
	v_mul_f16_e32 v113, 0x3b15, v47
	v_add_f16_e32 v38, v100, v38
	;; [unrolled: 2-line block ×3, first 2 shown]
	v_add_f16_e32 v24, v40, v37
	v_add_f16_e32 v21, v44, v21
	v_sub_f16_e32 v37, v111, v68
	v_add_f16_sdwa v20, v20, v4 dst_sel:DWORD dst_unused:UNUSED_PAD src0_sel:DWORD src1_sel:WORD_1
	v_add_f16_e32 v40, v49, v118
	v_pk_add_f16 v5, v16, v5
	v_mul_f16_e32 v108, 0x2fb7, v46
	v_mul_f16_e32 v46, 0x388b, v46
	;; [unrolled: 1-line block ×3, first 2 shown]
	v_sub_f16_e32 v100, v100, v112
	v_mul_f16_e32 v112, 0xbbc4, v97
	v_add_f16_e32 v87, v87, v93
	v_mul_f16_e32 v93, 0x388b, v55
	v_sub_f16_e32 v39, v45, v39
	v_add_f16_e32 v36, v36, v4
	v_add_f16_e32 v21, v37, v21
	v_sub_f16_e32 v37, v113, v70
	v_add_f16_e32 v20, v40, v20
	v_add_f16_e32 v15, v60, v99
	v_pk_add_f16 v5, v8, v5
	v_mul_f16_e32 v109, 0xb5ac, v47
	v_mul_f16_e32 v47, 0xbbc4, v47
	v_add_f16_e32 v41, v94, v41
	v_add_f16_e32 v101, v101, v112
	;; [unrolled: 1-line block ×3, first 2 shown]
	v_sub_f16_e32 v42, v46, v42
	v_add_f16_sdwa v46, v72, v4 dst_sel:DWORD dst_unused:UNUSED_PAD src0_sel:DWORD src1_sel:WORD_1
	v_add_f16_e32 v72, v73, v92
	v_add_f16_e32 v21, v37, v21
	v_sub_f16_e32 v37, v93, v78
	v_add_f16_e32 v15, v15, v20
	v_add_f16_e32 v16, v66, v88
	v_sub_f16_e32 v19, v115, v19
	v_pk_add_f16 v5, v9, v5
	v_bfi_b32 v9, 0xffff, v54, v52
	v_mul_f16_e32 v97, 0x2fb7, v97
	v_mul_f16_e32 v94, 0xb9fd, v55
	v_add_f16_e32 v41, v101, v41
	v_mul_f16_e32 v101, 0x3b15, v102
	v_mul_f16_e32 v55, 0x3b15, v55
	v_add_f16_e32 v36, v42, v36
	v_sub_f16_e32 v42, v47, v43
	v_add_f16_e32 v43, v72, v46
	v_add_f16_e32 v46, v84, v98
	;; [unrolled: 1-line block ×5, first 2 shown]
	v_sub_f16_e32 v16, v123, v22
	v_bfi_b32 v21, 0xffff, v58, v53
	v_pk_add_f16 v5, v6, v5
	v_pk_add_f16 v6, v9, v114
	v_mul_f16_e32 v112, 0x2fb7, v102
	v_add_f16_e32 v38, v100, v38
	v_mul_f16_e32 v100, 0x388b, v102
	v_mul_f16_e32 v102, 0xbbc4, v102
	v_add_f16_e32 v101, v103, v101
	v_add_f16_e32 v36, v42, v36
	v_sub_f16_e32 v42, v55, v48
	v_add_f16_e32 v43, v46, v43
	v_add_f16_e32 v46, v90, v97
	;; [unrolled: 1-line block ×3, first 2 shown]
	v_sub_f16_e32 v9, v108, v51
	v_bfi_b32 v16, 0xffff, v65, v64
	v_pk_add_f16 v5, v7, v5
	v_pk_add_f16 v6, v21, v6
	v_mul_f16_e32 v103, 0xb5ac, v107
	v_add_f16_e32 v41, v101, v41
	v_mul_f16_e32 v101, 0x3b15, v107
	v_mul_f16_e32 v39, 0xb9fd, v107
	;; [unrolled: 1-line block ×3, first 2 shown]
	v_add_f16_e32 v36, v42, v36
	v_add_f16_e32 v42, v46, v43
	;; [unrolled: 1-line block ×4, first 2 shown]
	v_sub_f16_e32 v7, v109, v61
	v_bfi_b32 v9, 0xffff, v71, v69
	v_pk_add_f16 v2, v2, v5
	v_pk_add_f16 v5, v16, v6
	v_mul_f16_e32 v45, 0xbbc4, v59
	v_add_f16_e32 v42, v43, v42
	v_add_f16_e32 v43, v104, v107
	;; [unrolled: 1-line block ×3, first 2 shown]
	v_bfi_b32 v6, 0xffff, v79, v80
	v_add_f16_e32 v4, v7, v4
	v_sub_f16_e32 v7, v94, v67
	v_pk_add_f16 v2, v3, v2
	v_pk_add_f16 v3, v9, v5
	v_add_f16_e32 v103, v110, v103
	v_mul_f16_e32 v110, 0xb9fd, v59
	v_add_f16_e32 v42, v43, v42
	v_add_f16_e32 v43, v81, v100
	;; [unrolled: 1-line block ×4, first 2 shown]
	v_bfi_b32 v9, 0xffff, v86, v89
	v_add_f16_e32 v4, v7, v4
	v_pk_add_f16 v0, v0, v2
	v_pk_add_f16 v2, v6, v3
	v_sub_f16_e32 v3, v45, v76
	v_mul_f16_e32 v59, 0xb5ac, v59
	v_add_f16_e32 v24, v43, v24
	v_add_f16_e32 v20, v91, v39
	;; [unrolled: 1-line block ×3, first 2 shown]
	v_mov_b32_e32 v6, 2
	v_pk_add_f16 v0, v1, v0
	v_pk_add_f16 v1, v9, v2
	v_add_f16_e32 v2, v3, v4
	v_sub_f16_e32 v3, v110, v77
	v_sub_f16_e32 v46, v59, v56
	v_lshlrev_b32_sdwa v4, v6, v29 dst_sel:DWORD dst_unused:UNUSED_PAD src0_sel:DWORD src1_sel:WORD_0
	v_pk_add_f16 v0, v17, v0
	v_alignbit_b32 v5, v5, v1, 16
	v_pack_b32_f16 v1, v2, v1
	v_add_f16_e32 v2, v20, v24
	v_add_f16_e32 v3, v3, v8
	;; [unrolled: 1-line block ×4, first 2 shown]
	ds_write_b32 v4, v0
	ds_write2_b32 v4, v1, v5 offset0:1 offset1:2
	v_pack_b32_f16 v0, v23, v42
	v_pack_b32_f16 v1, v3, v2
	;; [unrolled: 1-line block ×4, first 2 shown]
	v_perm_b32 v5, v35, v11, 0x5040100
	v_perm_b32 v6, v25, v18, 0x5040100
	v_perm_b32 v7, v33, v13, 0x5040100
	v_perm_b32 v8, v34, v12, 0x5040100
	v_perm_b32 v9, v32, v30, 0x5040100
	v_perm_b32 v15, v31, v14, 0x5040100
	ds_write2_b32 v4, v1, v0 offset0:3 offset1:4
	ds_write2_b32 v4, v3, v2 offset0:5 offset1:6
	ds_write2_b32 v4, v6, v5 offset0:7 offset1:8
	ds_write2_b32 v4, v8, v7 offset0:9 offset1:10
	ds_write2_b32 v4, v15, v9 offset0:11 offset1:12
.LBB0_7:
	s_or_b32 exec_lo, exec_lo, s4
	v_and_b32_e32 v0, 0xff, v28
	s_load_dwordx4 s[20:23], s[0:1], 0x0
	s_waitcnt lgkmcnt(0)
	s_barrier
	buffer_gl0_inv
	v_mul_lo_u16 v0, 0x4f, v0
	v_add_nc_u32_e32 v38, 0x200, v26
	v_mov_b32_e32 v21, 0x5b
	v_cmp_gt_u16_e64 s0, 39, v28
	v_lshrrev_b16 v17, 10, v0
	v_mul_lo_u16 v0, v17, 13
	v_mul_u32_u24_sdwa v17, v17, v21 dst_sel:DWORD dst_unused:UNUSED_PAD src0_sel:WORD_0 src1_sel:DWORD
	v_sub_nc_u16 v0, v28, v0
	v_and_b32_e32 v19, 0xff, v0
	v_mul_u32_u24_e32 v0, 6, v19
	v_add_lshl_u32 v36, v17, v19, 2
	v_lshlrev_b32_e32 v4, 2, v0
	s_clause 0x1
	global_load_dwordx4 v[0:3], v4, s[2:3]
	global_load_dwordx2 v[15:16], v4, s[2:3] offset:16
	ds_read2_b32 v[4:5], v26 offset1:52
	ds_read2_b32 v[6:7], v26 offset0:104 offset1:156
	ds_read_b32 v20, v26 offset:1248
	ds_read2_b32 v[8:9], v38 offset0:80 offset1:132
	s_waitcnt vmcnt(0) lgkmcnt(0)
	s_barrier
	buffer_gl0_inv
	v_lshrrev_b32_e32 v21, 16, v5
	v_lshrrev_b32_e32 v22, 16, v6
	;; [unrolled: 1-line block ×6, first 2 shown]
	v_mul_f16_sdwa v17, v21, v0 dst_sel:DWORD dst_unused:UNUSED_PAD src0_sel:DWORD src1_sel:WORD_1
	v_mul_f16_sdwa v19, v5, v0 dst_sel:DWORD dst_unused:UNUSED_PAD src0_sel:DWORD src1_sel:WORD_1
	;; [unrolled: 1-line block ×12, first 2 shown]
	v_fma_f16 v5, v5, v0, -v17
	v_fmac_f16_e32 v19, v21, v0
	v_fma_f16 v6, v6, v1, -v40
	v_fmac_f16_e32 v41, v22, v1
	;; [unrolled: 2-line block ×6, first 2 shown]
	v_add_f16_e32 v20, v5, v17
	v_add_f16_e32 v21, v19, v49
	v_sub_f16_e32 v5, v5, v17
	v_sub_f16_e32 v17, v19, v49
	v_add_f16_e32 v19, v6, v9
	v_add_f16_e32 v22, v41, v47
	v_sub_f16_e32 v6, v6, v9
	v_sub_f16_e32 v9, v41, v47
	;; [unrolled: 4-line block ×4, first 2 shown]
	v_sub_f16_e32 v20, v20, v23
	v_sub_f16_e32 v21, v21, v24
	;; [unrolled: 1-line block ×4, first 2 shown]
	v_add_f16_e32 v42, v7, v6
	v_add_f16_e32 v43, v8, v9
	v_sub_f16_e32 v44, v7, v6
	v_sub_f16_e32 v45, v8, v9
	;; [unrolled: 1-line block ×3, first 2 shown]
	v_add_f16_e32 v23, v23, v37
	v_add_f16_e32 v24, v24, v39
	v_sub_f16_e32 v9, v9, v17
	v_sub_f16_e32 v7, v5, v7
	;; [unrolled: 1-line block ×3, first 2 shown]
	v_add_f16_e32 v5, v42, v5
	v_add_f16_e32 v17, v43, v17
	v_mul_f16_e32 v20, 0x3a52, v20
	v_mul_f16_e32 v21, 0x3a52, v21
	;; [unrolled: 1-line block ×7, first 2 shown]
	v_add_f16_e32 v46, v4, v23
	v_add_f16_sdwa v4, v4, v24 dst_sel:DWORD dst_unused:UNUSED_PAD src0_sel:WORD_1 src1_sel:DWORD
	v_mul_f16_e32 v45, 0x3b00, v9
	v_fmamk_f16 v19, v19, 0x2b26, v20
	v_fmamk_f16 v22, v22, 0x2b26, v21
	v_fma_f16 v37, v40, 0x39e0, -v37
	v_fma_f16 v39, v41, 0x39e0, -v39
	;; [unrolled: 1-line block ×4, first 2 shown]
	v_fmamk_f16 v40, v7, 0x3574, v42
	v_fmamk_f16 v41, v8, 0x3574, v43
	v_fma_f16 v6, v6, 0x3b00, -v42
	v_fma_f16 v7, v7, 0xb574, -v44
	v_fmamk_f16 v23, v23, 0xbcab, v46
	v_fmamk_f16 v24, v24, 0xbcab, v4
	v_fma_f16 v9, v9, 0x3b00, -v43
	v_fma_f16 v8, v8, 0xb574, -v45
	v_fmac_f16_e32 v40, 0x370e, v5
	v_fmac_f16_e32 v41, 0x370e, v17
	;; [unrolled: 1-line block ×4, first 2 shown]
	v_add_f16_e32 v5, v19, v23
	v_add_f16_e32 v22, v22, v24
	v_fmac_f16_e32 v9, 0x370e, v17
	v_fmac_f16_e32 v8, 0x370e, v17
	v_add_f16_e32 v17, v37, v23
	v_add_f16_e32 v20, v20, v23
	;; [unrolled: 1-line block ×5, first 2 shown]
	v_sub_f16_e32 v39, v22, v40
	v_pack_b32_f16 v4, v46, v4
	v_add_f16_e32 v43, v8, v20
	v_sub_f16_e32 v44, v21, v7
	v_sub_f16_e32 v45, v17, v9
	v_add_f16_e32 v46, v6, v23
	v_add_f16_e32 v19, v9, v17
	v_sub_f16_e32 v42, v23, v6
	v_sub_f16_e32 v20, v20, v8
	v_add_f16_e32 v37, v7, v21
	v_sub_f16_e32 v17, v5, v41
	v_add_f16_e32 v40, v40, v22
	v_pack_b32_f16 v5, v24, v39
	v_pack_b32_f16 v6, v43, v44
	v_pack_b32_f16 v7, v45, v46
	v_pack_b32_f16 v8, v19, v42
	v_pack_b32_f16 v9, v20, v37
	v_pack_b32_f16 v21, v17, v40
	ds_write2_b32 v36, v4, v5 offset1:13
	ds_write2_b32 v36, v6, v7 offset0:26 offset1:39
	ds_write2_b32 v36, v8, v9 offset0:52 offset1:65
	ds_write_b32 v36, v21 offset:312
	s_waitcnt lgkmcnt(0)
	s_barrier
	buffer_gl0_inv
	ds_read2_b32 v[21:22], v26 offset1:91
	ds_read2_b32 v[23:24], v38 offset0:54 offset1:145
	s_and_saveexec_b32 s1, s0
	s_cbranch_execz .LBB0_9
; %bb.8:
	ds_read2_b32 v[19:20], v26 offset0:52 offset1:143
	ds_read2_b32 v[17:18], v38 offset0:106 offset1:197
	s_waitcnt lgkmcnt(1)
	v_lshrrev_b32_e32 v42, 16, v19
	v_lshrrev_b32_e32 v37, 16, v20
	s_waitcnt lgkmcnt(0)
	v_lshrrev_b32_e32 v40, 16, v17
	v_lshrrev_b32_e32 v25, 16, v18
.LBB0_9:
	s_or_b32 exec_lo, exec_lo, s1
	v_add_nc_u32_e32 v6, 52, v28
	v_subrev_nc_u32_e32 v7, 39, v28
	v_mad_u64_u32 v[4:5], null, v28, 12, s[2:3]
	s_waitcnt lgkmcnt(1)
	v_lshrrev_b32_e32 v39, 16, v22
	s_waitcnt lgkmcnt(0)
	v_lshrrev_b32_e32 v41, 16, v23
	v_cndmask_b32_e64 v6, v7, v6, s0
	v_lshrrev_b32_e32 v44, 16, v24
	v_lshrrev_b32_e32 v43, 16, v21
	global_load_dwordx3 v[7:9], v[4:5], off offset:312
	v_mul_i32_i24_e32 v4, 12, v6
	v_mul_hi_i32_i24_e32 v5, 12, v6
	v_add_co_u32 v4, s1, s2, v4
	v_add_co_ci_u32_e64 v5, s1, s3, v5, s1
	global_load_dwordx3 v[4:6], v[4:5], off offset:312
	s_waitcnt vmcnt(1)
	v_mul_f16_sdwa v45, v39, v7 dst_sel:DWORD dst_unused:UNUSED_PAD src0_sel:DWORD src1_sel:WORD_1
	v_mul_f16_sdwa v46, v22, v7 dst_sel:DWORD dst_unused:UNUSED_PAD src0_sel:DWORD src1_sel:WORD_1
	;; [unrolled: 1-line block ×6, first 2 shown]
	v_fma_f16 v22, v22, v7, -v45
	v_fmac_f16_e32 v46, v39, v7
	v_fma_f16 v23, v23, v8, -v47
	v_fmac_f16_e32 v48, v41, v8
	;; [unrolled: 2-line block ×3, first 2 shown]
	v_sub_f16_e32 v23, v21, v23
	v_sub_f16_e32 v41, v43, v48
	;; [unrolled: 1-line block ×4, first 2 shown]
	s_waitcnt vmcnt(0)
	v_mul_f16_sdwa v44, v37, v4 dst_sel:DWORD dst_unused:UNUSED_PAD src0_sel:DWORD src1_sel:WORD_1
	v_mul_f16_sdwa v45, v20, v4 dst_sel:DWORD dst_unused:UNUSED_PAD src0_sel:DWORD src1_sel:WORD_1
	;; [unrolled: 1-line block ×6, first 2 shown]
	v_fma_f16 v51, v21, 2.0, -v23
	v_fma_f16 v22, v22, 2.0, -v24
	;; [unrolled: 1-line block ×3, first 2 shown]
	v_sub_f16_e32 v21, v23, v39
	v_add_f16_e32 v39, v41, v24
	v_fma_f16 v24, v20, v4, -v44
	v_fmac_f16_e32 v45, v37, v4
	v_fma_f16 v17, v17, v5, -v47
	v_fmac_f16_e32 v48, v40, v5
	;; [unrolled: 2-line block ×3, first 2 shown]
	v_fma_f16 v43, v43, 2.0, -v41
	v_sub_f16_e32 v20, v51, v22
	v_fma_f16 v18, v23, 2.0, -v21
	v_sub_f16_e32 v22, v19, v17
	v_sub_f16_e32 v44, v42, v48
	;; [unrolled: 1-line block ×5, first 2 shown]
	v_fma_f16 v19, v19, 2.0, -v22
	v_fma_f16 v47, v42, 2.0, -v44
	;; [unrolled: 1-line block ×7, first 2 shown]
	v_sub_f16_e32 v25, v22, v25
	v_sub_f16_e32 v24, v19, v24
	v_sub_f16_e32 v43, v47, v42
	v_add_f16_e32 v42, v44, v23
	v_pack_b32_f16 v48, v18, v41
	v_pack_b32_f16 v50, v17, v37
	v_fma_f16 v23, v22, 2.0, -v25
	v_fma_f16 v22, v19, 2.0, -v24
	;; [unrolled: 1-line block ×4, first 2 shown]
	v_pack_b32_f16 v46, v21, v39
	v_pack_b32_f16 v49, v20, v40
	ds_write2_b32 v26, v50, v48 offset1:91
	ds_write2_b32 v38, v49, v46 offset0:54 offset1:145
	s_and_saveexec_b32 s1, s0
	s_cbranch_execz .LBB0_11
; %bb.10:
	v_perm_b32 v19, v45, v22, 0x5040100
	v_perm_b32 v38, v44, v23, 0x5040100
	;; [unrolled: 1-line block ×4, first 2 shown]
	v_add_nc_u32_e32 v48, 0x200, v26
	ds_write2_b32 v26, v19, v38 offset0:52 offset1:143
	ds_write2_b32 v48, v46, v47 offset0:106 offset1:197
.LBB0_11:
	s_or_b32 exec_lo, exec_lo, s1
	s_waitcnt lgkmcnt(0)
	s_barrier
	buffer_gl0_inv
	s_and_saveexec_b32 s1, vcc_lo
	s_cbranch_execz .LBB0_13
; %bb.12:
	global_load_dword v19, v26, s[18:19] offset:1456
	s_add_u32 s2, s18, 0x5b0
	s_addc_u32 s3, s19, 0
	s_clause 0xb
	global_load_dword v38, v26, s[2:3] offset:112
	global_load_dword v58, v26, s[2:3] offset:224
	global_load_dword v59, v26, s[2:3] offset:336
	global_load_dword v60, v26, s[2:3] offset:448
	global_load_dword v61, v26, s[2:3] offset:560
	global_load_dword v62, v26, s[2:3] offset:672
	global_load_dword v63, v26, s[2:3] offset:784
	global_load_dword v64, v26, s[2:3] offset:896
	global_load_dword v65, v26, s[2:3] offset:1008
	global_load_dword v66, v26, s[2:3] offset:1120
	global_load_dword v67, v26, s[2:3] offset:1232
	global_load_dword v68, v26, s[2:3] offset:1344
	ds_read_b32 v46, v26
	v_add_nc_u32_e32 v69, 0x400, v26
	s_waitcnt lgkmcnt(0)
	v_lshrrev_b32_e32 v47, 16, v46
	s_waitcnt vmcnt(12)
	v_mul_f16_sdwa v48, v47, v19 dst_sel:DWORD dst_unused:UNUSED_PAD src0_sel:DWORD src1_sel:WORD_1
	v_mul_f16_sdwa v49, v46, v19 dst_sel:DWORD dst_unused:UNUSED_PAD src0_sel:DWORD src1_sel:WORD_1
	v_fma_f16 v46, v46, v19, -v48
	v_fmac_f16_e32 v49, v47, v19
	v_pack_b32_f16 v19, v46, v49
	ds_write_b32 v26, v19
	v_add_nc_u32_e32 v19, 0x200, v26
	ds_read2_b32 v[46:47], v26 offset0:28 offset1:56
	ds_read2_b32 v[48:49], v26 offset0:84 offset1:112
	;; [unrolled: 1-line block ×6, first 2 shown]
	s_waitcnt lgkmcnt(5)
	v_lshrrev_b32_e32 v70, 16, v46
	s_waitcnt vmcnt(11)
	v_mul_f16_sdwa v71, v46, v38 dst_sel:DWORD dst_unused:UNUSED_PAD src0_sel:DWORD src1_sel:WORD_1
	v_lshrrev_b32_e32 v72, 16, v47
	s_waitcnt vmcnt(10)
	v_mul_f16_sdwa v73, v47, v58 dst_sel:DWORD dst_unused:UNUSED_PAD src0_sel:DWORD src1_sel:WORD_1
	s_waitcnt lgkmcnt(4)
	v_lshrrev_b32_e32 v74, 16, v48
	s_waitcnt vmcnt(9)
	v_mul_f16_sdwa v75, v48, v59 dst_sel:DWORD dst_unused:UNUSED_PAD src0_sel:DWORD src1_sel:WORD_1
	v_lshrrev_b32_e32 v76, 16, v49
	s_waitcnt vmcnt(8)
	v_mul_f16_sdwa v77, v49, v60 dst_sel:DWORD dst_unused:UNUSED_PAD src0_sel:DWORD src1_sel:WORD_1
	;; [unrolled: 7-line block ×5, first 2 shown]
	s_waitcnt lgkmcnt(0)
	v_lshrrev_b32_e32 v90, 16, v56
	s_waitcnt vmcnt(1)
	v_mul_f16_sdwa v91, v56, v67 dst_sel:DWORD dst_unused:UNUSED_PAD src0_sel:DWORD src1_sel:WORD_1
	v_lshrrev_b32_e32 v92, 16, v57
	v_mul_f16_sdwa v94, v70, v38 dst_sel:DWORD dst_unused:UNUSED_PAD src0_sel:DWORD src1_sel:WORD_1
	v_fmac_f16_e32 v71, v70, v38
	v_mul_f16_sdwa v70, v72, v58 dst_sel:DWORD dst_unused:UNUSED_PAD src0_sel:DWORD src1_sel:WORD_1
	v_fmac_f16_e32 v73, v72, v58
	;; [unrolled: 2-line block ×9, first 2 shown]
	v_mul_f16_sdwa v86, v88, v66 dst_sel:DWORD dst_unused:UNUSED_PAD src0_sel:DWORD src1_sel:WORD_1
	s_waitcnt vmcnt(0)
	v_mul_f16_sdwa v93, v57, v68 dst_sel:DWORD dst_unused:UNUSED_PAD src0_sel:DWORD src1_sel:WORD_1
	v_fmac_f16_e32 v89, v88, v66
	v_mul_f16_sdwa v88, v90, v67 dst_sel:DWORD dst_unused:UNUSED_PAD src0_sel:DWORD src1_sel:WORD_1
	v_fmac_f16_e32 v91, v90, v67
	v_mul_f16_sdwa v90, v92, v68 dst_sel:DWORD dst_unused:UNUSED_PAD src0_sel:DWORD src1_sel:WORD_1
	v_fma_f16 v38, v46, v38, -v94
	v_fma_f16 v46, v47, v58, -v70
	;; [unrolled: 1-line block ×10, first 2 shown]
	v_fmac_f16_e32 v93, v92, v68
	v_fma_f16 v55, v56, v67, -v88
	v_fma_f16 v56, v57, v68, -v90
	v_pack_b32_f16 v38, v38, v71
	v_pack_b32_f16 v46, v46, v73
	;; [unrolled: 1-line block ×12, first 2 shown]
	ds_write2_b32 v26, v38, v46 offset0:28 offset1:56
	ds_write2_b32 v26, v47, v48 offset0:84 offset1:112
	;; [unrolled: 1-line block ×6, first 2 shown]
.LBB0_13:
	s_or_b32 exec_lo, exec_lo, s1
	s_waitcnt lgkmcnt(0)
	s_barrier
	buffer_gl0_inv
	s_and_saveexec_b32 s1, vcc_lo
	s_cbranch_execz .LBB0_15
; %bb.14:
	v_add_nc_u32_e32 v13, 0x400, v26
	ds_read2_b32 v[17:18], v26 offset1:28
	ds_read2_b32 v[20:21], v26 offset0:56 offset1:84
	ds_read2_b32 v[22:23], v26 offset0:112 offset1:140
	;; [unrolled: 1-line block ×5, first 2 shown]
	ds_read_b32 v30, v26 offset:1344
	s_waitcnt lgkmcnt(6)
	v_lshrrev_b32_e32 v37, 16, v17
	v_lshrrev_b32_e32 v41, 16, v18
	s_waitcnt lgkmcnt(5)
	v_lshrrev_b32_e32 v40, 16, v20
	v_lshrrev_b32_e32 v39, 16, v21
	;; [unrolled: 3-line block ×6, first 2 shown]
	s_waitcnt lgkmcnt(0)
	v_lshrrev_b32_e32 v32, 16, v30
.LBB0_15:
	s_or_b32 exec_lo, exec_lo, s1
	v_sub_f16_e32 v62, v41, v32
	v_add_f16_e32 v67, v32, v41
	v_add_f16_e32 v46, v30, v18
	v_sub_f16_e32 v61, v40, v31
	v_sub_f16_e32 v49, v18, v30
	v_mul_f16_e32 v58, 0xb3a8, v62
	v_mul_f16_e32 v73, 0xbbc4, v67
	v_add_f16_e32 v47, v14, v20
	v_add_f16_e32 v69, v31, v40
	v_mul_f16_e32 v59, 0x3770, v61
	v_fma_f16 v19, v46, 0xbbc4, -v58
	v_fmamk_f16 v38, v49, 0xb3a8, v73
	v_sub_f16_e32 v48, v20, v14
	v_mul_f16_e32 v76, 0x3b15, v69
	v_sub_f16_e32 v63, v39, v33
	v_add_f16_e32 v19, v17, v19
	v_fma_f16 v51, v47, 0x3b15, -v59
	v_add_f16_e32 v71, v33, v39
	v_add_f16_e32 v38, v37, v38
	v_fmamk_f16 v52, v48, 0x3770, v76
	v_add_f16_e32 v50, v13, v21
	v_mul_f16_e32 v60, 0xb94e, v63
	v_add_f16_e32 v19, v51, v19
	v_sub_f16_e32 v51, v21, v13
	v_mul_f16_e32 v78, 0xb9fd, v71
	v_sub_f16_e32 v64, v45, v34
	v_add_f16_e32 v38, v52, v38
	v_fma_f16 v54, v50, 0xb9fd, -v60
	v_add_f16_e32 v72, v34, v45
	v_fmamk_f16 v55, v51, 0xb94e, v78
	v_add_f16_e32 v52, v12, v22
	v_mul_f16_e32 v74, 0x3a95, v64
	v_sub_f16_e32 v53, v22, v12
	v_mul_f16_e32 v79, 0x388b, v72
	v_add_f16_e32 v19, v54, v19
	v_add_f16_e32 v38, v55, v38
	v_sub_f16_e32 v65, v44, v35
	v_fma_f16 v55, v52, 0x388b, -v74
	v_add_f16_e32 v70, v35, v44
	v_fmamk_f16 v56, v53, 0x3a95, v79
	v_add_f16_e32 v54, v11, v23
	v_mul_f16_e32 v77, 0xbb7b, v65
	v_add_f16_e32 v19, v55, v19
	v_sub_f16_e32 v55, v23, v11
	v_mul_f16_e32 v80, 0xb5ac, v70
	v_sub_f16_e32 v66, v43, v42
	v_add_f16_e32 v68, v42, v43
	v_add_f16_e32 v38, v56, v38
	v_fma_f16 v82, v54, 0xb5ac, -v77
	v_fmamk_f16 v83, v55, 0xbb7b, v80
	v_add_f16_e32 v56, v25, v24
	v_sub_f16_e32 v57, v24, v25
	v_mul_f16_e32 v75, 0x3bf1, v66
	v_mul_f16_e32 v81, 0x2fb7, v68
	v_add_f16_e32 v19, v82, v19
	v_add_f16_e32 v38, v83, v38
	v_fma_f16 v82, v56, 0x2fb7, -v75
	v_fmamk_f16 v83, v57, 0x3bf1, v81
	s_barrier
	buffer_gl0_inv
	v_add_f16_e32 v19, v82, v19
	v_add_f16_e32 v38, v83, v38
	s_and_saveexec_b32 s1, vcc_lo
	s_cbranch_execz .LBB0_17
; %bb.16:
	v_mul_f16_e32 v82, 0xb3a8, v49
	v_mul_f16_e32 v85, 0x3770, v48
	;; [unrolled: 1-line block ×5, first 2 shown]
	v_sub_f16_e32 v73, v73, v82
	v_mul_f16_e32 v82, 0xb94e, v51
	v_sub_f16_e32 v76, v76, v85
	v_add_f16_e32 v58, v83, v58
	v_mul_f16_e32 v86, 0xb9fd, v50
	v_add_f16_e32 v73, v37, v73
	v_sub_f16_e32 v78, v78, v82
	v_mul_f16_e32 v89, 0xbb7b, v55
	v_add_f16_e32 v59, v84, v59
	v_add_f16_e32 v58, v17, v58
	;; [unrolled: 1-line block ×3, first 2 shown]
	v_sub_f16_e32 v79, v79, v88
	v_mul_f16_e32 v87, 0x388b, v52
	v_add_f16_e32 v60, v86, v60
	v_add_f16_e32 v58, v59, v58
	;; [unrolled: 1-line block ×3, first 2 shown]
	v_mul_f16_e32 v78, 0xb9fd, v67
	v_sub_f16_e32 v59, v80, v89
	v_mul_f16_e32 v85, 0xb5ac, v54
	v_add_f16_e32 v74, v87, v74
	v_add_f16_e32 v73, v79, v73
	v_mul_f16_e32 v79, 0x3bf1, v57
	v_add_f16_e32 v58, v60, v58
	v_fmamk_f16 v60, v49, 0x394e, v78
	v_add_f16_e32 v77, v85, v77
	v_add_f16_e32 v59, v59, v73
	v_mul_f16_e32 v73, 0x2fb7, v69
	v_sub_f16_e32 v79, v81, v79
	v_add_f16_e32 v74, v74, v58
	v_add_f16_e32 v60, v37, v60
	v_mul_f16_e32 v81, 0x388b, v71
	v_fmamk_f16 v80, v48, 0xbbf1, v73
	v_add_f16_e32 v58, v79, v59
	v_add_f16_e32 v59, v77, v74
	v_mul_f16_e32 v79, 0xbbc4, v72
	v_fmamk_f16 v77, v51, 0x3a95, v81
	v_add_f16_e32 v60, v80, v60
	v_mul_f16_e32 v76, 0x2fb7, v56
	v_mul_f16_e32 v74, 0xb94e, v62
	;; [unrolled: 1-line block ×4, first 2 shown]
	v_add_f16_e32 v60, v77, v60
	v_fmamk_f16 v77, v53, 0xb3a8, v79
	v_add_f16_e32 v75, v76, v75
	v_fmamk_f16 v76, v46, 0xb9fd, v74
	v_fmamk_f16 v83, v47, 0x2fb7, v80
	v_mul_f16_e32 v84, 0xba95, v63
	v_add_f16_e32 v60, v77, v60
	v_fmamk_f16 v77, v55, 0xb770, v82
	v_add_f16_e32 v76, v17, v76
	v_mul_f16_e32 v85, 0xb5ac, v67
	v_add_f16_e32 v59, v75, v59
	v_mul_f16_e32 v89, 0xb9fd, v69
	;; [unrolled: 2-line block ×3, first 2 shown]
	v_add_f16_e32 v75, v83, v76
	v_fmamk_f16 v76, v50, 0x388b, v84
	v_mul_f16_e32 v83, 0x33a8, v64
	v_fmamk_f16 v88, v49, 0x3b7b, v85
	v_fmamk_f16 v87, v57, 0x3b7b, v77
	v_mul_f16_e32 v86, 0x3770, v65
	v_add_f16_e32 v75, v76, v75
	v_fmamk_f16 v76, v52, 0xbbc4, v83
	v_mul_f16_e32 v90, 0x3b15, v71
	v_add_f16_e32 v60, v87, v60
	v_add_f16_e32 v87, v37, v88
	v_fmamk_f16 v88, v48, 0xb94e, v89
	v_add_f16_e32 v75, v76, v75
	v_fmamk_f16 v76, v54, 0x3b15, v86
	v_mul_f16_e32 v91, 0xbb7b, v62
	v_mul_f16_e32 v92, 0x2fb7, v72
	v_add_f16_e32 v87, v88, v87
	v_fmamk_f16 v88, v51, 0xb770, v90
	v_add_f16_e32 v75, v76, v75
	v_mul_f16_e32 v76, 0xbb7b, v66
	v_fmamk_f16 v94, v46, 0xb5ac, v91
	v_mul_f16_e32 v95, 0x394e, v61
	v_add_f16_e32 v87, v88, v87
	v_fmamk_f16 v88, v53, 0x3bf1, v92
	v_mul_f16_e32 v96, 0xbbc4, v70
	v_fmamk_f16 v93, v56, 0xb5ac, v76
	v_add_f16_e32 v94, v17, v94
	v_fmamk_f16 v97, v47, 0xb9fd, v95
	v_mul_f16_e32 v98, 0x3770, v63
	v_add_f16_e32 v87, v88, v87
	v_fmamk_f16 v88, v55, 0xb3a8, v96
	v_add_f16_e32 v75, v93, v75
	v_add_f16_e32 v93, v97, v94
	v_fmamk_f16 v94, v50, 0x3b15, v98
	v_mul_f16_e32 v97, 0xbbf1, v64
	v_add_f16_e32 v87, v88, v87
	v_mul_f16_e32 v88, 0x388b, v68
	v_mul_f16_e32 v99, 0x2fb7, v67
	v_add_f16_e32 v93, v94, v93
	v_fmamk_f16 v94, v52, 0x2fb7, v97
	v_mul_f16_e32 v100, 0x33a8, v65
	v_fmamk_f16 v101, v57, 0xba95, v88
	v_fmamk_f16 v102, v49, 0x3bf1, v99
	v_mul_f16_e32 v103, 0xbbc4, v69
	v_add_f16_e32 v93, v94, v93
	v_fmamk_f16 v94, v54, 0xbbc4, v100
	v_add_f16_e32 v87, v101, v87
	v_add_f16_e32 v101, v37, v102
	v_fmamk_f16 v102, v48, 0x33a8, v103
	v_mul_f16_e32 v104, 0xb5ac, v71
	v_mul_f16_e32 v105, 0xbbf1, v62
	v_add_f16_e32 v93, v94, v93
	v_mul_f16_e32 v94, 0x3a95, v66
	v_add_f16_e32 v101, v102, v101
	v_fmamk_f16 v102, v51, 0xbb7b, v104
	v_mul_f16_e32 v106, 0x3b15, v72
	v_fmamk_f16 v108, v46, 0x2fb7, v105
	v_mul_f16_e32 v109, 0xb3a8, v61
	v_fmamk_f16 v107, v56, 0x388b, v94
	v_add_f16_e32 v101, v102, v101
	v_fmamk_f16 v102, v53, 0xb770, v106
	v_mul_f16_e32 v110, 0x388b, v70
	v_add_f16_e32 v108, v17, v108
	v_fmamk_f16 v111, v47, 0xbbc4, v109
	v_mul_f16_e32 v112, 0x3b7b, v63
	v_add_f16_e32 v101, v102, v101
	v_fmamk_f16 v102, v55, 0x3a95, v110
	v_add_f16_e32 v93, v107, v93
	v_add_f16_e32 v107, v111, v108
	v_fmamk_f16 v108, v50, 0xb5ac, v112
	v_mul_f16_e32 v111, 0x3770, v64
	v_add_f16_e32 v101, v102, v101
	v_mul_f16_e32 v102, 0x388b, v67
	v_mul_f16_e32 v114, 0xba95, v65
	v_add_f16_e32 v107, v108, v107
	v_fmamk_f16 v108, v52, 0x3b15, v111
	v_mul_f16_e32 v113, 0xb9fd, v68
	v_fmamk_f16 v115, v49, 0x3a95, v102
	v_mul_f16_e32 v116, 0xb5ac, v69
	v_mul_f16_e32 v119, 0xbbc4, v71
	v_add_f16_e32 v107, v108, v107
	v_fmamk_f16 v108, v54, 0x388b, v114
	v_fmamk_f16 v117, v57, 0x394e, v113
	v_add_f16_e32 v115, v37, v115
	v_fmamk_f16 v118, v48, 0x3b7b, v116
	v_mul_f16_e32 v122, 0xbb7b, v61
	v_add_f16_e32 v107, v108, v107
	v_mul_f16_e32 v108, 0xba95, v62
	v_add_f16_e32 v101, v117, v101
	v_add_f16_e32 v115, v118, v115
	v_fmamk_f16 v117, v51, 0x33a8, v119
	v_mul_f16_e32 v118, 0xb9fd, v72
	v_fmamk_f16 v121, v46, 0x388b, v108
	v_mul_f16_e32 v123, 0x2fb7, v70
	v_fmamk_f16 v124, v47, 0xb5ac, v122
	v_add_f16_e32 v115, v117, v115
	v_fmamk_f16 v117, v53, 0xb94e, v118
	v_add_f16_e32 v121, v17, v121
	v_mul_f16_e32 v125, 0xb3a8, v63
	v_mul_f16_e32 v127, 0x394e, v64
	;; [unrolled: 1-line block ×3, first 2 shown]
	v_add_f16_e32 v115, v117, v115
	v_fmamk_f16 v117, v55, 0xbbf1, v123
	v_add_f16_e32 v121, v124, v121
	v_fmamk_f16 v124, v50, 0xbbc4, v125
	;; [unrolled: 2-line block ×3, first 2 shown]
	v_add_f16_e32 v115, v117, v115
	v_mul_f16_e32 v69, 0x388b, v69
	v_add_f16_e32 v117, v124, v121
	v_fmamk_f16 v121, v52, 0xb9fd, v127
	v_mul_f16_e32 v124, 0x3bf1, v65
	v_add_f16_e32 v18, v20, v18
	v_mul_f16_e32 v129, 0x3770, v66
	v_add_f16_e32 v128, v37, v128
	v_add_f16_e32 v117, v121, v117
	v_fmamk_f16 v121, v54, 0x2fb7, v124
	v_fmamk_f16 v130, v48, 0x3a95, v69
	v_mul_f16_e32 v71, 0x2fb7, v71
	v_add_f16_e32 v18, v21, v18
	v_mul_f16_e32 v72, 0xb5ac, v72
	v_add_f16_e32 v117, v121, v117
	v_fmamk_f16 v121, v56, 0x3b15, v129
	v_add_f16_e32 v128, v130, v128
	v_fmamk_f16 v130, v51, 0x3bf1, v71
	v_add_f16_e32 v20, v41, v37
	v_add_f16_e32 v18, v22, v18
	;; [unrolled: 1-line block ×3, first 2 shown]
	v_mul_f16_e32 v70, 0xb9fd, v70
	v_add_f16_e32 v121, v130, v128
	v_fmamk_f16 v128, v53, 0x3b7b, v72
	v_mul_f16_e32 v62, 0xb770, v62
	v_add_f16_e32 v20, v40, v20
	v_add_f16_e32 v18, v23, v18
	v_mul_f16_e32 v21, 0xba95, v61
	v_add_f16_e32 v41, v128, v121
	v_fmamk_f16 v121, v55, 0x394e, v70
	v_fmamk_f16 v128, v46, 0x3b15, v62
	v_add_f16_e32 v20, v39, v20
	v_add_f16_e32 v18, v24, v18
	v_fmamk_f16 v22, v47, 0x388b, v21
	v_add_f16_e32 v40, v121, v41
	v_add_f16_e32 v41, v17, v128
	v_mul_f16_e32 v39, 0xbbf1, v63
	v_add_f16_e32 v20, v45, v20
	v_add_f16_e32 v18, v25, v18
	v_mul_f16_e32 v25, 0xb94e, v65
	v_add_f16_e32 v22, v22, v41
	v_fmamk_f16 v23, v50, 0x2fb7, v39
	v_mul_f16_e32 v41, 0xbb7b, v64
	v_add_f16_e32 v20, v44, v20
	v_add_f16_e32 v11, v11, v18
	v_fmac_f16_e32 v78, 0xb94e, v49
	v_add_f16_e32 v22, v23, v22
	v_fmamk_f16 v23, v52, 0xb5ac, v41
	v_add_f16_e32 v20, v43, v20
	v_add_f16_e32 v11, v12, v11
	v_fmac_f16_e32 v73, 0x3bf1, v48
	v_fmac_f16_e32 v102, 0xba95, v49
	v_add_f16_e32 v22, v23, v22
	v_add_f16_e32 v18, v42, v20
	v_fmamk_f16 v20, v54, 0xb9fd, v25
	v_mul_f16_e32 v23, 0xb3a8, v66
	v_add_f16_e32 v11, v13, v11
	v_fmac_f16_e32 v116, 0xbb7b, v48
	v_add_f16_e32 v12, v35, v18
	v_add_f16_e32 v18, v37, v78
	;; [unrolled: 1-line block ×3, first 2 shown]
	v_fmamk_f16 v22, v56, 0xbbc4, v23
	v_add_f16_e32 v11, v14, v11
	v_fma_f16 v14, v46, 0xb9fd, -v74
	v_add_f16_e32 v13, v73, v18
	v_add_f16_e32 v12, v34, v12
	;; [unrolled: 1-line block ×3, first 2 shown]
	v_fma_f16 v20, v47, 0x2fb7, -v80
	v_add_f16_e32 v14, v17, v14
	v_add_f16_e32 v11, v30, v11
	;; [unrolled: 1-line block ×3, first 2 shown]
	v_fma_f16 v30, v46, 0xb5ac, -v91
	v_fma_f16 v33, v47, 0xbbc4, -v109
	v_add_f16_e32 v14, v20, v14
	v_fma_f16 v20, v50, 0x388b, -v84
	v_add_f16_e32 v12, v31, v12
	v_add_f16_e32 v30, v17, v30
	v_fma_f16 v31, v47, 0xb9fd, -v95
	v_add_f16_e32 v34, v37, v102
	;; [unrolled: 3-line block ×3, first 2 shown]
	v_add_f16_e32 v30, v31, v30
	v_fma_f16 v31, v50, 0x3b15, -v98
	v_fma_f16 v32, v54, 0xbbc4, -v100
	v_add_f16_e32 v14, v20, v14
	v_fma_f16 v20, v54, 0x3b15, -v86
	v_mul_f16_e32 v120, 0xb94e, v66
	v_add_f16_e32 v34, v116, v34
	v_fmac_f16_e32 v119, 0xb3a8, v51
	v_fmac_f16_e32 v85, 0xbb7b, v49
	v_add_f16_e32 v14, v20, v14
	v_fma_f16 v20, v56, 0xb5ac, -v76
	v_fmac_f16_e32 v99, 0xbbf1, v49
	v_fmac_f16_e32 v67, 0xb770, v49
	v_fma_f16 v35, v46, 0x3b15, -v62
	v_add_f16_e32 v22, v37, v85
	v_add_f16_e32 v14, v20, v14
	;; [unrolled: 1-line block ×3, first 2 shown]
	v_fma_f16 v30, v52, 0x2fb7, -v97
	v_fmac_f16_e32 v89, 0x394e, v48
	v_add_f16_e32 v31, v37, v99
	v_fmac_f16_e32 v103, 0xb3a8, v48
	v_add_f16_e32 v37, v37, v67
	v_add_f16_e32 v20, v30, v20
	v_fma_f16 v30, v46, 0x2fb7, -v105
	v_fmac_f16_e32 v69, 0xba95, v48
	v_fma_f16 v21, v47, 0x388b, -v21
	v_fmamk_f16 v126, v56, 0xb9fd, v120
	v_add_f16_e32 v20, v32, v20
	v_add_f16_e32 v30, v17, v30
	v_fma_f16 v32, v50, 0xb5ac, -v112
	v_fmac_f16_e32 v81, 0xba95, v51
	v_add_f16_e32 v22, v89, v22
	v_fmac_f16_e32 v90, 0x3770, v51
	v_add_f16_e32 v30, v33, v30
	v_fma_f16 v33, v56, 0x388b, -v94
	v_add_f16_e32 v31, v103, v31
	v_fmac_f16_e32 v104, 0x3b7b, v51
	v_fmac_f16_e32 v71, 0xbbf1, v51
	v_add_f16_e32 v30, v32, v30
	v_fma_f16 v32, v52, 0x3b15, -v111
	v_add_f16_e32 v20, v33, v20
	v_add_f16_e32 v33, v119, v34
	v_fma_f16 v34, v46, 0x388b, -v108
	v_mul_f16_e32 v61, 0xbbc4, v68
	v_add_f16_e32 v30, v32, v30
	v_fma_f16 v32, v54, 0x388b, -v114
	v_add_f16_e32 v107, v126, v107
	v_mul_f16_e32 v126, 0x3b15, v68
	v_add_f16_e32 v13, v81, v13
	v_fmac_f16_e32 v79, 0x33a8, v53
	v_add_f16_e32 v30, v32, v30
	v_fma_f16 v32, v56, 0xb9fd, -v120
	v_add_f16_e32 v22, v90, v22
	v_fmac_f16_e32 v92, 0xbbf1, v53
	v_add_f16_e32 v31, v104, v31
	v_fmac_f16_e32 v106, 0x3770, v53
	v_add_f16_e32 v30, v32, v30
	v_add_f16_e32 v32, v17, v34
	v_fma_f16 v34, v47, 0xb5ac, -v122
	v_add_f16_e32 v17, v17, v35
	v_add_f16_e32 v35, v69, v37
	v_fmac_f16_e32 v118, 0x394e, v53
	v_fmac_f16_e32 v72, 0xbb7b, v53
	v_add_f16_e32 v32, v34, v32
	v_fma_f16 v34, v50, 0xbbc4, -v125
	v_add_f16_e32 v17, v21, v17
	v_fma_f16 v21, v50, 0x2fb7, -v39
	v_add_f16_e32 v35, v71, v35
	v_fmamk_f16 v24, v57, 0x33a8, v61
	v_add_f16_e32 v32, v34, v32
	v_fma_f16 v34, v52, 0xb9fd, -v127
	v_add_f16_e32 v17, v21, v17
	v_fma_f16 v21, v52, 0xb5ac, -v41
	v_fmamk_f16 v131, v57, 0xb770, v126
	v_add_f16_e32 v13, v79, v13
	v_add_f16_e32 v32, v34, v32
	v_fma_f16 v34, v54, 0x2fb7, -v124
	v_fmac_f16_e32 v82, 0x3770, v55
	v_add_f16_e32 v22, v92, v22
	v_fmac_f16_e32 v96, 0x33a8, v55
	v_add_f16_e32 v31, v106, v31
	;; [unrolled: 2-line block ×4, first 2 shown]
	v_add_f16_e32 v34, v72, v35
	v_fmac_f16_e32 v70, 0xb94e, v55
	v_add_f16_e32 v17, v21, v17
	v_fma_f16 v21, v54, 0xb9fd, -v25
	v_add_f16_e32 v24, v24, v40
	v_mov_b32_e32 v35, 2
	v_add_f16_e32 v115, v131, v115
	v_add_f16_e32 v13, v82, v13
	v_fmac_f16_e32 v77, 0xbb7b, v57
	v_add_f16_e32 v22, v96, v22
	v_fmac_f16_e32 v88, 0x3a95, v57
	;; [unrolled: 2-line block ×4, first 2 shown]
	v_fma_f16 v25, v56, 0x3b15, -v129
	v_add_f16_e32 v34, v70, v34
	v_fmac_f16_e32 v61, 0xb3a8, v57
	v_add_f16_e32 v17, v21, v17
	v_fma_f16 v21, v56, 0xbbc4, -v23
	v_lshlrev_b32_sdwa v23, v35, v29 dst_sel:DWORD dst_unused:UNUSED_PAD src0_sel:DWORD src1_sel:WORD_0
	v_pack_b32_f16 v18, v18, v24
	v_pack_b32_f16 v11, v11, v12
	;; [unrolled: 1-line block ×4, first 2 shown]
	v_add_f16_e32 v13, v77, v13
	v_add_f16_e32 v22, v88, v22
	;; [unrolled: 1-line block ×7, first 2 shown]
	ds_write2_b32 v23, v11, v18 offset1:1
	ds_write2_b32 v23, v24, v12 offset0:2 offset1:3
	v_pack_b32_f16 v11, v75, v60
	v_pack_b32_f16 v12, v93, v87
	;; [unrolled: 1-line block ×3, first 2 shown]
	v_perm_b32 v21, v38, v19, 0x5040100
	v_pack_b32_f16 v20, v20, v22
	v_pack_b32_f16 v13, v14, v13
	;; [unrolled: 1-line block ×5, first 2 shown]
	ds_write2_b32 v23, v12, v11 offset0:4 offset1:5
	ds_write2_b32 v23, v18, v21 offset0:6 offset1:7
	;; [unrolled: 1-line block ×4, first 2 shown]
	ds_write_b32 v23, v17 offset:48
.LBB0_17:
	s_or_b32 exec_lo, exec_lo, s1
	s_waitcnt lgkmcnt(0)
	s_barrier
	buffer_gl0_inv
	ds_read2_b32 v[11:12], v26 offset1:52
	ds_read2_b32 v[17:18], v26 offset0:104 offset1:156
	v_add_nc_u32_e32 v13, 0x200, v26
	ds_read_b32 v14, v26 offset:1248
	ds_read2_b32 v[20:21], v13 offset0:80 offset1:132
	s_waitcnt lgkmcnt(0)
	s_barrier
	buffer_gl0_inv
	v_lshrrev_b32_e32 v22, 16, v12
	v_lshrrev_b32_e32 v23, 16, v17
	v_mul_f16_sdwa v29, v0, v12 dst_sel:DWORD dst_unused:UNUSED_PAD src0_sel:WORD_1 src1_sel:DWORD
	v_lshrrev_b32_e32 v24, 16, v18
	v_mul_f16_sdwa v30, v1, v17 dst_sel:DWORD dst_unused:UNUSED_PAD src0_sel:WORD_1 src1_sel:DWORD
	;; [unrolled: 2-line block ×3, first 2 shown]
	v_lshrrev_b32_e32 v33, 16, v20
	v_lshrrev_b32_e32 v34, 16, v21
	v_mul_f16_sdwa v35, v0, v22 dst_sel:DWORD dst_unused:UNUSED_PAD src0_sel:WORD_1 src1_sel:DWORD
	v_fma_f16 v22, v0, v22, -v29
	v_mul_f16_sdwa v29, v1, v23 dst_sel:DWORD dst_unused:UNUSED_PAD src0_sel:WORD_1 src1_sel:DWORD
	v_mul_f16_sdwa v32, v16, v14 dst_sel:DWORD dst_unused:UNUSED_PAD src0_sel:WORD_1 src1_sel:DWORD
	v_fma_f16 v23, v1, v23, -v30
	v_mul_f16_sdwa v30, v2, v24 dst_sel:DWORD dst_unused:UNUSED_PAD src0_sel:WORD_1 src1_sel:DWORD
	v_fma_f16 v24, v2, v24, -v31
	v_mul_f16_sdwa v31, v3, v20 dst_sel:DWORD dst_unused:UNUSED_PAD src0_sel:WORD_1 src1_sel:DWORD
	v_mul_f16_sdwa v37, v15, v21 dst_sel:DWORD dst_unused:UNUSED_PAD src0_sel:WORD_1 src1_sel:DWORD
	;; [unrolled: 1-line block ×3, first 2 shown]
	v_fmac_f16_e32 v35, v0, v12
	v_fmac_f16_e32 v29, v1, v17
	v_mul_f16_sdwa v0, v3, v33 dst_sel:DWORD dst_unused:UNUSED_PAD src0_sel:WORD_1 src1_sel:DWORD
	v_mul_f16_sdwa v1, v15, v34 dst_sel:DWORD dst_unused:UNUSED_PAD src0_sel:WORD_1 src1_sel:DWORD
	v_fma_f16 v25, v16, v25, -v32
	v_fmac_f16_e32 v30, v2, v18
	v_fmac_f16_e32 v39, v16, v14
	v_fma_f16 v2, v3, v33, -v31
	v_fmac_f16_e32 v0, v3, v20
	v_fmac_f16_e32 v1, v15, v21
	v_fma_f16 v3, v15, v34, -v37
	v_add_f16_e32 v12, v35, v39
	v_add_f16_e32 v14, v22, v25
	v_sub_f16_e32 v16, v22, v25
	v_add_f16_e32 v17, v29, v1
	v_add_f16_e32 v18, v23, v3
	v_sub_f16_e32 v1, v29, v1
	v_sub_f16_e32 v3, v23, v3
	v_add_f16_e32 v20, v30, v0
	v_add_f16_e32 v21, v24, v2
	v_sub_f16_e32 v0, v0, v30
	;; [unrolled: 4-line block ×3, first 2 shown]
	v_sub_f16_e32 v24, v17, v12
	v_sub_f16_e32 v25, v18, v14
	;; [unrolled: 1-line block ×6, first 2 shown]
	v_add_f16_e32 v29, v0, v1
	v_add_f16_e32 v30, v2, v3
	v_sub_f16_e32 v31, v0, v1
	v_sub_f16_e32 v32, v2, v3
	v_add_f16_e32 v20, v20, v22
	v_add_f16_e32 v21, v21, v23
	v_sub_f16_e32 v1, v1, v15
	v_sub_f16_e32 v3, v3, v16
	;; [unrolled: 1-line block ×4, first 2 shown]
	v_add_f16_e32 v15, v29, v15
	v_add_f16_e32 v16, v30, v16
	;; [unrolled: 1-line block ×3, first 2 shown]
	v_add_f16_sdwa v11, v11, v21 dst_sel:DWORD dst_unused:UNUSED_PAD src0_sel:WORD_1 src1_sel:DWORD
	v_mul_f16_e32 v12, 0x3a52, v12
	v_mul_f16_e32 v14, 0x3a52, v14
	;; [unrolled: 1-line block ×8, first 2 shown]
	v_fmamk_f16 v20, v20, 0xbcab, v22
	v_fmamk_f16 v21, v21, 0xbcab, v11
	v_fmamk_f16 v17, v17, 0x2b26, v12
	v_fmamk_f16 v18, v18, 0x2b26, v14
	v_fma_f16 v23, v24, 0x39e0, -v23
	v_fma_f16 v29, v25, 0x39e0, -v29
	;; [unrolled: 1-line block ×4, first 2 shown]
	v_fmamk_f16 v24, v0, 0xb574, v30
	v_fmamk_f16 v25, v2, 0xb574, v31
	v_fma_f16 v1, v1, 0xbb00, -v30
	v_fma_f16 v3, v3, 0xbb00, -v31
	;; [unrolled: 1-line block ×4, first 2 shown]
	v_add_f16_e32 v17, v17, v20
	v_add_f16_e32 v31, v18, v21
	v_fmac_f16_e32 v24, 0xb70e, v15
	v_fmac_f16_e32 v25, 0xb70e, v16
	v_add_f16_e32 v0, v23, v20
	v_add_f16_e32 v18, v29, v21
	;; [unrolled: 1-line block ×4, first 2 shown]
	v_fmac_f16_e32 v1, 0xb70e, v15
	v_fmac_f16_e32 v2, 0xb70e, v16
	;; [unrolled: 1-line block ×4, first 2 shown]
	v_add_f16_e32 v21, v25, v17
	v_sub_f16_e32 v23, v31, v24
	v_add_f16_e32 v29, v2, v12
	v_sub_f16_e32 v32, v20, v30
	v_sub_f16_e32 v33, v0, v3
	v_add_f16_e32 v34, v1, v18
	v_add_f16_e32 v0, v3, v0
	v_sub_f16_e32 v14, v18, v1
	v_sub_f16_e32 v1, v12, v2
	v_add_f16_e32 v16, v30, v20
	v_sub_f16_e32 v18, v17, v25
	v_add_f16_e32 v15, v24, v31
	v_pack_b32_f16 v2, v22, v11
	v_pack_b32_f16 v3, v21, v23
	;; [unrolled: 1-line block ×7, first 2 shown]
	ds_write2_b32 v36, v2, v3 offset1:13
	ds_write2_b32 v36, v11, v12 offset0:26 offset1:39
	ds_write2_b32 v36, v17, v20 offset0:52 offset1:65
	ds_write_b32 v36, v21 offset:312
	s_waitcnt lgkmcnt(0)
	s_barrier
	buffer_gl0_inv
	ds_read2_b32 v[2:3], v26 offset1:91
	ds_read2_b32 v[11:12], v13 offset0:54 offset1:145
	s_and_saveexec_b32 s1, s0
	s_cbranch_execz .LBB0_19
; %bb.18:
	ds_read2_b32 v[0:1], v26 offset0:52 offset1:143
	ds_read2_b32 v[18:19], v13 offset0:106 offset1:197
	s_waitcnt lgkmcnt(1)
	v_lshrrev_b32_e32 v14, 16, v0
	v_lshrrev_b32_e32 v16, 16, v1
	s_waitcnt lgkmcnt(0)
	v_lshrrev_b32_e32 v15, 16, v18
	v_lshrrev_b32_e32 v38, 16, v19
.LBB0_19:
	s_or_b32 exec_lo, exec_lo, s1
	s_waitcnt lgkmcnt(1)
	v_lshrrev_b32_e32 v17, 16, v3
	s_waitcnt lgkmcnt(0)
	v_lshrrev_b32_e32 v21, 16, v11
	v_mul_f16_sdwa v22, v7, v3 dst_sel:DWORD dst_unused:UNUSED_PAD src0_sel:WORD_1 src1_sel:DWORD
	v_lshrrev_b32_e32 v23, 16, v12
	v_mul_f16_sdwa v25, v8, v11 dst_sel:DWORD dst_unused:UNUSED_PAD src0_sel:WORD_1 src1_sel:DWORD
	v_mul_f16_sdwa v24, v7, v17 dst_sel:DWORD dst_unused:UNUSED_PAD src0_sel:WORD_1 src1_sel:DWORD
	;; [unrolled: 1-line block ×3, first 2 shown]
	v_fma_f16 v17, v7, v17, -v22
	v_mul_f16_sdwa v22, v8, v21 dst_sel:DWORD dst_unused:UNUSED_PAD src0_sel:WORD_1 src1_sel:DWORD
	v_mul_f16_sdwa v30, v9, v23 dst_sel:DWORD dst_unused:UNUSED_PAD src0_sel:WORD_1 src1_sel:DWORD
	v_lshrrev_b32_e32 v20, 16, v2
	v_fma_f16 v21, v8, v21, -v25
	v_fma_f16 v23, v9, v23, -v29
	v_fmac_f16_e32 v24, v7, v3
	v_fmac_f16_e32 v22, v8, v11
	;; [unrolled: 1-line block ×3, first 2 shown]
	v_sub_f16_e32 v3, v20, v21
	v_sub_f16_e32 v7, v17, v23
	;; [unrolled: 1-line block ×4, first 2 shown]
	v_fma_f16 v11, v20, 2.0, -v3
	v_fma_f16 v12, v17, 2.0, -v7
	;; [unrolled: 1-line block ×4, first 2 shown]
	v_add_f16_e32 v7, v8, v7
	v_sub_f16_e32 v12, v11, v12
	v_sub_f16_e32 v9, v3, v9
	;; [unrolled: 1-line block ×3, first 2 shown]
	v_fma_f16 v8, v8, 2.0, -v7
	v_fma_f16 v11, v11, 2.0, -v12
	;; [unrolled: 1-line block ×3, first 2 shown]
	v_pack_b32_f16 v7, v7, v9
	v_fma_f16 v2, v2, 2.0, -v17
	v_pack_b32_f16 v3, v8, v3
	v_pack_b32_f16 v8, v17, v12
	;; [unrolled: 1-line block ×3, first 2 shown]
	ds_write2_b32 v26, v2, v3 offset1:91
	ds_write2_b32 v13, v8, v7 offset0:54 offset1:145
	s_and_saveexec_b32 s1, s0
	s_cbranch_execz .LBB0_21
; %bb.20:
	v_mul_f16_sdwa v2, v5, v15 dst_sel:DWORD dst_unused:UNUSED_PAD src0_sel:WORD_1 src1_sel:DWORD
	v_mul_f16_sdwa v3, v4, v1 dst_sel:DWORD dst_unused:UNUSED_PAD src0_sel:WORD_1 src1_sel:DWORD
	;; [unrolled: 1-line block ×6, first 2 shown]
	v_fmac_f16_e32 v2, v5, v18
	v_fma_f16 v3, v4, v16, -v3
	v_fmac_f16_e32 v8, v4, v1
	v_fmac_f16_e32 v9, v6, v19
	v_fma_f16 v1, v5, v15, -v7
	v_fma_f16 v4, v6, v38, -v11
	v_sub_f16_e32 v2, v0, v2
	v_sub_f16_e32 v5, v8, v9
	;; [unrolled: 1-line block ×4, first 2 shown]
	v_fma_f16 v0, v0, 2.0, -v2
	v_fma_f16 v6, v8, 2.0, -v5
	;; [unrolled: 1-line block ×4, first 2 shown]
	v_add_f16_e32 v4, v2, v4
	v_sub_f16_e32 v5, v1, v5
	v_sub_f16_e32 v6, v0, v6
	;; [unrolled: 1-line block ×3, first 2 shown]
	v_fma_f16 v2, v2, 2.0, -v4
	v_fma_f16 v1, v1, 2.0, -v5
	;; [unrolled: 1-line block ×3, first 2 shown]
	v_pack_b32_f16 v4, v4, v5
	v_fma_f16 v7, v7, 2.0, -v3
	v_pack_b32_f16 v3, v6, v3
	v_pack_b32_f16 v1, v2, v1
	v_add_nc_u32_e32 v2, 0x200, v26
	v_pack_b32_f16 v0, v0, v7
	ds_write2_b32 v26, v0, v1 offset0:52 offset1:143
	ds_write2_b32 v2, v3, v4 offset0:106 offset1:197
.LBB0_21:
	s_or_b32 exec_lo, exec_lo, s1
	s_waitcnt lgkmcnt(0)
	s_barrier
	buffer_gl0_inv
	s_and_b32 exec_lo, exec_lo, vcc_lo
	s_cbranch_execz .LBB0_23
; %bb.22:
	s_clause 0x5
	global_load_dword v2, v26, s[18:19]
	global_load_dword v3, v26, s[18:19] offset:112
	global_load_dword v11, v26, s[18:19] offset:224
	;; [unrolled: 1-line block ×5, first 2 shown]
	ds_read_b32 v24, v26
	global_load_dword v9, v26, s[18:19] offset:672
	v_mad_u64_u32 v[4:5], null, s22, v10, 0
	ds_read2_b32 v[15:16], v26 offset0:28 offset1:56
	v_mad_u64_u32 v[13:14], null, s20, v28, 0
	ds_read2_b32 v[17:18], v26 offset0:84 offset1:112
	s_mov_b32 s24, 0x16816817
	s_mov_b32 s25, 0x3f668168
	v_mov_b32_e32 v0, v5
	s_mul_i32 s0, s21, 0x70
	s_mul_hi_u32 s1, s20, 0x70
	v_mov_b32_e32 v5, v14
	s_mul_i32 s22, s20, 0x70
	v_mad_u64_u32 v[19:20], null, s23, v10, v[0:1]
	ds_read2_b32 v[0:1], v26 offset0:140 offset1:168
	v_mad_u64_u32 v[20:21], null, s21, v28, v[5:6]
	s_waitcnt lgkmcnt(3)
	v_lshrrev_b32_e32 v10, 16, v24
	s_add_i32 s23, s1, s0
	s_clause 0x2
	global_load_dword v7, v26, s[18:19] offset:784
	global_load_dword v6, v26, s[18:19] offset:896
	global_load_dword v8, v26, s[18:19] offset:1008
	v_mov_b32_e32 v5, v19
	s_waitcnt lgkmcnt(2)
	v_lshrrev_b32_e32 v19, 16, v15
	v_mov_b32_e32 v14, v20
	v_lshrrev_b32_e32 v20, 16, v16
	s_waitcnt lgkmcnt(1)
	v_lshrrev_b32_e32 v21, 16, v17
	v_lshrrev_b32_e32 v25, 16, v18
	v_lshlrev_b64 v[4:5], 2, v[4:5]
	v_lshlrev_b64 v[13:14], 2, v[13:14]
	v_add_co_u32 v4, vcc_lo, s6, v4
	s_waitcnt lgkmcnt(0)
	v_lshrrev_b32_e32 v28, 16, v0
	v_add_co_ci_u32_e32 v5, vcc_lo, s7, v5, vcc_lo
	v_add_co_u32 v13, vcc_lo, v4, v13
	v_add_co_ci_u32_e32 v14, vcc_lo, v5, v14, vcc_lo
	s_waitcnt vmcnt(9)
	v_mul_f16_sdwa v29, v10, v2 dst_sel:DWORD dst_unused:UNUSED_PAD src0_sel:DWORD src1_sel:WORD_1
	v_mul_f16_sdwa v30, v24, v2 dst_sel:DWORD dst_unused:UNUSED_PAD src0_sel:DWORD src1_sel:WORD_1
	s_waitcnt vmcnt(8)
	v_mul_f16_sdwa v31, v19, v3 dst_sel:DWORD dst_unused:UNUSED_PAD src0_sel:DWORD src1_sel:WORD_1
	v_mul_f16_sdwa v32, v15, v3 dst_sel:DWORD dst_unused:UNUSED_PAD src0_sel:DWORD src1_sel:WORD_1
	s_waitcnt vmcnt(7)
	v_mul_f16_sdwa v33, v20, v11 dst_sel:DWORD dst_unused:UNUSED_PAD src0_sel:DWORD src1_sel:WORD_1
	v_fmac_f16_e32 v29, v24, v2
	v_mul_f16_sdwa v34, v16, v11 dst_sel:DWORD dst_unused:UNUSED_PAD src0_sel:DWORD src1_sel:WORD_1
	v_fma_f16 v2, v2, v10, -v30
	v_fmac_f16_e32 v31, v15, v3
	v_fma_f16 v10, v3, v19, -v32
	v_cvt_f32_f16_e32 v3, v29
	s_waitcnt vmcnt(6)
	v_mul_f16_sdwa v35, v21, v12 dst_sel:DWORD dst_unused:UNUSED_PAD src0_sel:DWORD src1_sel:WORD_1
	v_mul_f16_sdwa v36, v17, v12 dst_sel:DWORD dst_unused:UNUSED_PAD src0_sel:DWORD src1_sel:WORD_1
	s_waitcnt vmcnt(5)
	v_mul_f16_sdwa v37, v25, v22 dst_sel:DWORD dst_unused:UNUSED_PAD src0_sel:DWORD src1_sel:WORD_1
	v_mul_f16_sdwa v38, v18, v22 dst_sel:DWORD dst_unused:UNUSED_PAD src0_sel:DWORD src1_sel:WORD_1
	v_fmac_f16_e32 v33, v16, v11
	v_fma_f16 v11, v11, v20, -v34
	v_cvt_f32_f16_e32 v16, v2
	v_cvt_f64_f32_e32 v[2:3], v3
	v_fmac_f16_e32 v35, v17, v12
	v_fma_f16 v12, v12, v21, -v36
	v_fmac_f16_e32 v37, v18, v22
	v_fma_f16 v15, v22, v25, -v38
	v_cvt_f32_f16_e32 v17, v31
	v_cvt_f32_f16_e32 v18, v10
	;; [unrolled: 1-line block ×3, first 2 shown]
	v_cvt_f64_f32_e32 v[10:11], v16
	v_cvt_f32_f16_e32 v32, v15
	v_cvt_f64_f32_e32 v[15:16], v17
	s_waitcnt vmcnt(4)
	v_mul_f16_sdwa v39, v28, v23 dst_sel:DWORD dst_unused:UNUSED_PAD src0_sel:DWORD src1_sel:WORD_1
	v_cvt_f32_f16_e32 v19, v33
	v_cvt_f64_f32_e32 v[17:18], v18
	v_mul_f16_sdwa v40, v0, v23 dst_sel:DWORD dst_unused:UNUSED_PAD src0_sel:DWORD src1_sel:WORD_1
	v_cvt_f64_f32_e32 v[21:22], v21
	v_fmac_f16_e32 v39, v0, v23
	v_cvt_f64_f32_e32 v[19:20], v19
	v_cvt_f32_f16_e32 v12, v12
	v_fma_f16 v0, v23, v28, -v40
	v_cvt_f32_f16_e32 v23, v35
	v_cvt_f32_f16_e32 v34, v39
	v_mul_f64 v[38:39], v[2:3], s[24:25]
	v_cvt_f32_f16_e32 v25, v37
	v_cvt_f64_f32_e32 v[28:29], v12
	v_cvt_f64_f32_e32 v[23:24], v23
	v_add_co_u32 v40, vcc_lo, v13, s22
	v_add_co_ci_u32_e32 v41, vcc_lo, s23, v14, vcc_lo
	v_mul_f64 v[10:11], v[10:11], s[24:25]
	v_cvt_f32_f16_e32 v0, v0
	v_mul_f64 v[15:16], v[15:16], s[24:25]
	v_cvt_f64_f32_e32 v[30:31], v25
	v_add_co_u32 v42, vcc_lo, v40, s22
	v_mul_f64 v[17:18], v[17:18], s[24:25]
	v_add_co_ci_u32_e32 v43, vcc_lo, s23, v41, vcc_lo
	v_mul_f64 v[19:20], v[19:20], s[24:25]
	v_cvt_f64_f32_e32 v[36:37], v0
	v_cvt_f64_f32_e32 v[32:33], v32
	v_add_co_u32 v44, vcc_lo, v42, s22
	v_and_or_b32 v0, 0x1ff, v39, v38
	v_mul_f64 v[21:22], v[21:22], s[24:25]
	v_add_co_ci_u32_e32 v45, vcc_lo, s23, v43, vcc_lo
	v_cvt_f64_f32_e32 v[34:35], v34
	v_cmp_ne_u32_e32 vcc_lo, 0, v0
	v_mul_f64 v[23:24], v[23:24], s[24:25]
	v_mul_f64 v[28:29], v[28:29], s[24:25]
	v_and_or_b32 v10, 0x1ff, v11, v10
	v_lshrrev_b32_e32 v12, 8, v39
	v_and_or_b32 v15, 0x1ff, v16, v15
	v_cndmask_b32_e64 v0, 0, 1, vcc_lo
	v_mul_f64 v[30:31], v[30:31], s[24:25]
	v_cmp_ne_u32_e32 vcc_lo, 0, v10
	v_and_or_b32 v17, 0x1ff, v18, v17
	v_bfe_u32 v25, v39, 20, 11
	v_bfe_u32 v38, v11, 20, 11
	v_and_or_b32 v19, 0x1ff, v20, v19
	v_cndmask_b32_e64 v10, 0, 1, vcc_lo
	v_cmp_ne_u32_e32 vcc_lo, 0, v15
	v_mul_f64 v[32:33], v[32:33], s[24:25]
	v_mul_f64 v[2:3], v[36:37], s[24:25]
	v_lshrrev_b32_e32 v37, 8, v11
	v_and_or_b32 v21, 0x1ff, v22, v21
	v_cndmask_b32_e64 v15, 0, 1, vcc_lo
	v_cmp_ne_u32_e32 vcc_lo, 0, v17
	v_mul_f64 v[34:35], v[34:35], s[24:25]
	v_and_or_b32 v0, 0xffe, v12, v0
	v_and_or_b32 v23, 0x1ff, v24, v23
	v_and_or_b32 v28, 0x1ff, v29, v28
	v_cndmask_b32_e64 v17, 0, 1, vcc_lo
	v_cmp_ne_u32_e32 vcc_lo, 0, v19
	v_lshrrev_b32_e32 v36, 16, v39
	v_lshrrev_b32_e32 v39, 8, v16
	v_and_or_b32 v30, 0x1ff, v31, v30
	v_bfe_u32 v46, v16, 20, 11
	v_cndmask_b32_e64 v19, 0, 1, vcc_lo
	v_cmp_ne_u32_e32 vcc_lo, 0, v21
	v_bfe_u32 v48, v18, 20, 11
	v_sub_nc_u32_e32 v63, 0x3f1, v25
	v_add_nc_u32_e32 v25, 0xfffffc10, v25
	v_sub_nc_u32_e32 v64, 0x3f1, v38
	v_cndmask_b32_e64 v21, 0, 1, vcc_lo
	v_cmp_ne_u32_e32 vcc_lo, 0, v23
	v_and_or_b32 v32, 0x1ff, v33, v32
	v_and_or_b32 v10, 0xffe, v37, v10
	v_lshrrev_b32_e32 v47, 8, v18
	v_bfe_u32 v50, v20, 20, 11
	v_cndmask_b32_e64 v23, 0, 1, vcc_lo
	v_cmp_ne_u32_e32 vcc_lo, 0, v28
	v_and_or_b32 v34, 0x1ff, v35, v34
	v_bfe_u32 v52, v22, 20, 11
	v_add_nc_u32_e32 v38, 0xfffffc10, v38
	v_sub_nc_u32_e32 v65, 0x3f1, v46
	v_cndmask_b32_e64 v28, 0, 1, vcc_lo
	v_cmp_ne_u32_e32 vcc_lo, 0, v30
	v_sub_nc_u32_e32 v66, 0x3f1, v48
	v_med3_i32 v12, v63, 0, 13
	v_med3_i32 v37, v64, 0, 13
	v_and_or_b32 v15, 0xffe, v39, v15
	v_cndmask_b32_e64 v30, 0, 1, vcc_lo
	v_cmp_ne_u32_e32 vcc_lo, 0, v32
	v_or_b32_e32 v63, 0x1000, v0
	v_lshl_or_b32 v64, v25, 12, v0
	v_lshrrev_b32_e32 v49, 8, v20
	v_lshrrev_b32_e32 v51, 8, v22
	v_cndmask_b32_e64 v32, 0, 1, vcc_lo
	v_cmp_ne_u32_e32 vcc_lo, 0, v34
	v_bfe_u32 v54, v24, 20, 11
	v_bfe_u32 v56, v29, 20, 11
	v_add_nc_u32_e32 v46, 0xfffffc10, v46
	v_sub_nc_u32_e32 v67, 0x3f1, v50
	v_cndmask_b32_e64 v34, 0, 1, vcc_lo
	v_cmp_ne_u32_e32 vcc_lo, 0, v0
	v_sub_nc_u32_e32 v68, 0x3f1, v52
	v_med3_i32 v39, v65, 0, 13
	v_and_or_b32 v17, 0xffe, v47, v17
	v_med3_i32 v47, v66, 0, 13
	v_cndmask_b32_e64 v0, 0, 1, vcc_lo
	v_cmp_ne_u32_e32 vcc_lo, 0, v10
	v_or_b32_e32 v65, 0x1000, v10
	v_lshl_or_b32 v66, v38, 12, v10
	v_lshrrev_b32_e32 v53, 8, v24
	v_lshrrev_b32_e32 v55, 8, v29
	v_cndmask_b32_e64 v10, 0, 1, vcc_lo
	v_cmp_ne_u32_e32 vcc_lo, 0, v15
	v_bfe_u32 v58, v31, 20, 11
	v_bfe_u32 v60, v33, 20, 11
	v_add_nc_u32_e32 v48, 0xfffffc10, v48
	v_sub_nc_u32_e32 v69, 0x3f1, v54
	v_sub_nc_u32_e32 v70, 0x3f1, v56
	v_and_or_b32 v19, 0xffe, v49, v19
	v_med3_i32 v49, v67, 0, 13
	v_and_or_b32 v21, 0xffe, v51, v21
	v_med3_i32 v51, v68, 0, 13
	v_or_b32_e32 v67, 0x1000, v15
	v_lshl_or_b32 v68, v46, 12, v15
	v_cndmask_b32_e64 v15, 0, 1, vcc_lo
	v_cmp_ne_u32_e32 vcc_lo, 0, v17
	v_lshrrev_b32_e32 v57, 8, v31
	v_lshrrev_b32_e32 v59, 8, v33
	v_bfe_u32 v62, v35, 20, 11
	v_add_nc_u32_e32 v50, 0xfffffc10, v50
	v_sub_nc_u32_e32 v71, 0x3f1, v58
	v_sub_nc_u32_e32 v72, 0x3f1, v60
	v_and_or_b32 v23, 0xffe, v53, v23
	v_med3_i32 v53, v69, 0, 13
	v_and_or_b32 v28, 0xffe, v55, v28
	v_med3_i32 v55, v70, 0, 13
	v_or_b32_e32 v69, 0x1000, v17
	v_lshl_or_b32 v70, v48, 12, v17
	v_cndmask_b32_e64 v17, 0, 1, vcc_lo
	v_cmp_ne_u32_e32 vcc_lo, 0, v19
	v_lshrrev_b32_e32 v61, 8, v35
	v_add_nc_u32_e32 v52, 0xfffffc10, v52
	v_sub_nc_u32_e32 v73, 0x3f1, v62
	v_and_or_b32 v30, 0xffe, v57, v30
	v_med3_i32 v57, v71, 0, 13
	v_and_or_b32 v32, 0xffe, v59, v32
	v_med3_i32 v59, v72, 0, 13
	v_or_b32_e32 v71, 0x1000, v19
	v_lshl_or_b32 v72, v50, 12, v19
	v_cndmask_b32_e64 v19, 0, 1, vcc_lo
	v_cmp_ne_u32_e32 vcc_lo, 0, v21
	v_add_nc_u32_e32 v54, 0xfffffc10, v54
	v_and_or_b32 v34, 0xffe, v61, v34
	v_med3_i32 v61, v73, 0, 13
	v_or_b32_e32 v73, 0x1000, v21
	v_lshl_or_b32 v74, v52, 12, v21
	v_cndmask_b32_e64 v21, 0, 1, vcc_lo
	v_cmp_ne_u32_e32 vcc_lo, 0, v23
	v_add_nc_u32_e32 v56, 0xfffffc10, v56
	v_or_b32_e32 v75, 0x1000, v23
	v_lshl_or_b32 v76, v54, 12, v23
	v_lshrrev_b32_e32 v84, v12, v63
	v_cndmask_b32_e64 v23, 0, 1, vcc_lo
	v_cmp_ne_u32_e32 vcc_lo, 0, v28
	v_add_nc_u32_e32 v58, 0xfffffc10, v58
	v_or_b32_e32 v77, 0x1000, v28
	v_lshl_or_b32 v78, v56, 12, v28
	v_lshrrev_b32_e32 v85, v37, v65
	v_cndmask_b32_e64 v28, 0, 1, vcc_lo
	v_cmp_ne_u32_e32 vcc_lo, 0, v30
	v_lshlrev_b32_e32 v12, v12, v84
	v_or_b32_e32 v79, 0x1000, v30
	v_lshl_or_b32 v80, v58, 12, v30
	v_lshrrev_b32_e32 v86, v39, v67
	v_cndmask_b32_e64 v30, 0, 1, vcc_lo
	v_lshlrev_b32_e32 v37, v37, v85
	v_cmp_ne_u32_e32 vcc_lo, v12, v63
	v_lshrrev_b32_e32 v87, v47, v69
	v_lshlrev_b32_e32 v39, v39, v86
	v_lshrrev_b32_e32 v88, v49, v71
	v_lshrrev_b32_e32 v89, v51, v73
	v_cndmask_b32_e64 v12, 0, 1, vcc_lo
	v_cmp_ne_u32_e32 vcc_lo, v37, v65
	v_lshlrev_b32_e32 v47, v47, v87
	v_lshlrev_b32_e32 v49, v49, v88
	v_lshrrev_b32_e32 v90, v53, v75
	v_lshlrev_b32_e32 v51, v51, v89
	v_cndmask_b32_e64 v37, 0, 1, vcc_lo
	v_cmp_ne_u32_e32 vcc_lo, v39, v67
	v_lshrrev_b32_e32 v91, v55, v77
	v_lshlrev_b32_e32 v53, v53, v90
	v_or_b32_e32 v81, 0x1000, v32
	v_lshrrev_b32_e32 v92, v57, v79
	v_cndmask_b32_e64 v39, 0, 1, vcc_lo
	v_cmp_ne_u32_e32 vcc_lo, v47, v69
	v_lshlrev_b32_e32 v55, v55, v91
	v_lshrrev_b32_e32 v93, v59, v81
	v_lshlrev_b32_e32 v57, v57, v92
	v_or_b32_e32 v12, v84, v12
	v_cndmask_b32_e64 v47, 0, 1, vcc_lo
	v_cmp_ne_u32_e32 vcc_lo, v49, v71
	v_lshlrev_b32_e32 v59, v59, v93
	v_or_b32_e32 v37, v85, v37
	v_or_b32_e32 v39, v86, v39
	;; [unrolled: 1-line block ×3, first 2 shown]
	v_cndmask_b32_e64 v49, 0, 1, vcc_lo
	v_cmp_ne_u32_e32 vcc_lo, v51, v73
	v_add_nc_u32_e32 v60, 0xfffffc10, v60
	v_lshl_or_b32 v0, v0, 9, 0x7c00
	v_lshl_or_b32 v10, v10, 9, 0x7c00
	v_or_b32_e32 v49, v88, v49
	v_cndmask_b32_e64 v51, 0, 1, vcc_lo
	v_cmp_ne_u32_e32 vcc_lo, v53, v75
	v_lshl_or_b32 v82, v60, 12, v32
	v_lshl_or_b32 v15, v15, 9, 0x7c00
	;; [unrolled: 1-line block ×3, first 2 shown]
	v_or_b32_e32 v51, v89, v51
	v_cndmask_b32_e64 v53, 0, 1, vcc_lo
	v_cmp_ne_u32_e32 vcc_lo, v55, v77
	v_lshl_or_b32 v19, v19, 9, 0x7c00
	v_lshl_or_b32 v21, v21, 9, 0x7c00
	v_lshrrev_b32_e32 v11, 16, v11
	v_or_b32_e32 v53, v90, v53
	v_cndmask_b32_e64 v55, 0, 1, vcc_lo
	v_cmp_ne_u32_e32 vcc_lo, v57, v79
	v_lshrrev_b32_e32 v16, 16, v16
	v_lshrrev_b32_e32 v18, 16, v18
	;; [unrolled: 1-line block ×3, first 2 shown]
	v_or_b32_e32 v55, v91, v55
	v_cndmask_b32_e64 v57, 0, 1, vcc_lo
	v_cmp_ne_u32_e32 vcc_lo, v59, v81
	v_lshl_or_b32 v23, v23, 9, 0x7c00
	v_lshrrev_b32_e32 v22, 16, v22
	v_lshl_or_b32 v28, v28, 9, 0x7c00
	v_or_b32_e32 v57, v92, v57
	v_cndmask_b32_e64 v59, 0, 1, vcc_lo
	v_cmp_gt_i32_e32 vcc_lo, 1, v25
	v_lshl_or_b32 v30, v30, 9, 0x7c00
	v_or_b32_e32 v83, 0x1000, v34
	v_lshrrev_b32_e32 v31, 16, v31
	v_or_b32_e32 v59, v93, v59
	v_cndmask_b32_e32 v12, v64, v12, vcc_lo
	v_cmp_gt_i32_e32 vcc_lo, 1, v38
	v_lshrrev_b32_e32 v24, 16, v24
	v_lshrrev_b32_e32 v29, 16, v29
	v_and_or_b32 v2, 0x1ff, v3, v2
	v_and_b32_e32 v63, 7, v12
	v_cndmask_b32_e32 v37, v66, v37, vcc_lo
	v_cmp_gt_i32_e32 vcc_lo, 1, v46
	v_lshrrev_b32_e32 v12, 2, v12
	v_cmp_eq_u32_e64 s0, 3, v63
	v_and_b32_e32 v64, 7, v37
	v_cndmask_b32_e32 v39, v68, v39, vcc_lo
	v_cmp_gt_i32_e32 vcc_lo, 1, v48
	v_lshrrev_b32_e32 v37, 2, v37
	v_cmp_lt_i32_e64 s1, 5, v64
	v_and_b32_e32 v65, 7, v39
	v_cndmask_b32_e32 v47, v70, v47, vcc_lo
	v_cmp_gt_i32_e32 vcc_lo, 1, v50
	v_cmp_eq_u32_e64 s2, 3, v64
	v_lshrrev_b32_e32 v39, 2, v39
	v_cmp_lt_i32_e64 s3, 5, v65
	v_and_b32_e32 v66, 7, v47
	v_cndmask_b32_e32 v49, v72, v49, vcc_lo
	v_cmp_gt_i32_e32 vcc_lo, 1, v52
	v_cmp_eq_u32_e64 s4, 3, v65
	v_lshrrev_b32_e32 v47, 2, v47
	v_cmp_lt_i32_e64 s5, 5, v66
	v_and_b32_e32 v67, 7, v49
	v_cndmask_b32_e32 v51, v74, v51, vcc_lo
	v_cmp_gt_i32_e32 vcc_lo, 1, v54
	v_cmp_eq_u32_e64 s6, 3, v66
	v_lshrrev_b32_e32 v49, 2, v49
	v_cmp_lt_i32_e64 s7, 5, v67
	v_and_b32_e32 v68, 7, v51
	v_cndmask_b32_e32 v53, v76, v53, vcc_lo
	v_cmp_gt_i32_e32 vcc_lo, 1, v56
	v_cmp_eq_u32_e64 s8, 3, v67
	v_lshrrev_b32_e32 v51, 2, v51
	v_cmp_lt_i32_e64 s9, 5, v68
	v_and_b32_e32 v69, 7, v53
	v_cndmask_b32_e32 v55, v78, v55, vcc_lo
	v_cmp_gt_i32_e32 vcc_lo, 1, v58
	v_cmp_eq_u32_e64 s10, 3, v68
	v_lshrrev_b32_e32 v53, 2, v53
	v_cmp_lt_i32_e64 s11, 5, v69
	v_and_b32_e32 v70, 7, v55
	v_cndmask_b32_e32 v57, v80, v57, vcc_lo
	v_cmp_gt_i32_e32 vcc_lo, 1, v60
	v_cmp_eq_u32_e64 s12, 3, v69
	v_lshrrev_b32_e32 v55, 2, v55
	v_cmp_lt_i32_e64 s13, 5, v70
	v_and_b32_e32 v71, 7, v57
	v_cndmask_b32_e32 v59, v82, v59, vcc_lo
	v_cmp_lt_i32_e32 vcc_lo, 5, v63
	v_cmp_eq_u32_e64 s14, 3, v70
	v_lshrrev_b32_e32 v57, 2, v57
	v_cmp_lt_i32_e64 s15, 5, v71
	v_cmp_eq_u32_e64 s16, 3, v71
	s_or_b32 vcc_lo, s0, vcc_lo
	v_and_b32_e32 v72, 7, v59
	v_add_co_ci_u32_e32 v12, vcc_lo, 0, v12, vcc_lo
	s_or_b32 vcc_lo, s2, s1
	v_add_co_ci_u32_e32 v37, vcc_lo, 0, v37, vcc_lo
	s_or_b32 vcc_lo, s4, s3
	v_cmp_lt_i32_e64 s17, 5, v72
	v_add_co_ci_u32_e32 v39, vcc_lo, 0, v39, vcc_lo
	s_or_b32 vcc_lo, s6, s5
	v_add_co_ci_u32_e32 v47, vcc_lo, 0, v47, vcc_lo
	s_or_b32 vcc_lo, s8, s7
	v_add_co_ci_u32_e32 v49, vcc_lo, 0, v49, vcc_lo
	s_or_b32 vcc_lo, s10, s9
	v_add_co_ci_u32_e32 v51, vcc_lo, 0, v51, vcc_lo
	s_or_b32 vcc_lo, s12, s11
	v_add_co_ci_u32_e32 v53, vcc_lo, 0, v53, vcc_lo
	s_or_b32 vcc_lo, s14, s13
	v_add_co_ci_u32_e32 v55, vcc_lo, 0, v55, vcc_lo
	s_or_b32 vcc_lo, s16, s15
	v_add_co_ci_u32_e32 v57, vcc_lo, 0, v57, vcc_lo
	v_cmp_gt_i32_e32 vcc_lo, 31, v25
	v_cndmask_b32_e32 v12, 0x7c00, v12, vcc_lo
	v_cmp_gt_i32_e32 vcc_lo, 31, v38
	v_cndmask_b32_e32 v37, 0x7c00, v37, vcc_lo
	;; [unrolled: 2-line block ×9, first 2 shown]
	v_cmp_eq_u32_e32 vcc_lo, 0x40f, v25
	v_cndmask_b32_e32 v0, v12, v0, vcc_lo
	v_cmp_eq_u32_e32 vcc_lo, 0x40f, v38
	v_and_or_b32 v0, 0x8000, v36, v0
	v_cndmask_b32_e32 v10, v37, v10, vcc_lo
	v_cmp_eq_u32_e32 vcc_lo, 0x40f, v46
	v_and_b32_e32 v0, 0xffff, v0
	v_and_or_b32 v10, 0x8000, v11, v10
	v_cndmask_b32_e32 v12, v39, v15, vcc_lo
	v_cmp_eq_u32_e32 vcc_lo, 0x40f, v48
	v_lshl_or_b32 v0, v10, 16, v0
	v_and_or_b32 v11, 0x8000, v16, v12
	v_cndmask_b32_e32 v15, v47, v17, vcc_lo
	v_cmp_eq_u32_e32 vcc_lo, 0x40f, v50
	v_and_b32_e32 v11, 0xffff, v11
	v_and_or_b32 v12, 0x8000, v18, v15
	v_cndmask_b32_e32 v17, v49, v19, vcc_lo
	v_cmp_eq_u32_e32 vcc_lo, 0x40f, v52
	v_lshl_or_b32 v10, v12, 16, v11
	v_and_or_b32 v15, 0x8000, v20, v17
	v_cndmask_b32_e32 v19, v51, v21, vcc_lo
	v_cmp_eq_u32_e32 vcc_lo, 0x40f, v54
	v_bfe_u32 v20, v3, 20, 11
	v_and_b32_e32 v15, 0xffff, v15
	v_and_or_b32 v16, 0x8000, v22, v19
	v_cndmask_b32_e32 v21, v53, v23, vcc_lo
	v_cmp_eq_u32_e32 vcc_lo, 0x40f, v56
	v_lshrrev_b32_e32 v19, 16, v33
	v_lshl_or_b32 v11, v16, 16, v15
	global_store_dword v[13:14], v0, off
	global_store_dword v[40:41], v10, off
	;; [unrolled: 1-line block ×3, first 2 shown]
	v_cndmask_b32_e32 v23, v55, v28, vcc_lo
	v_cmp_eq_u32_e32 vcc_lo, 0x40f, v58
	v_lshrrev_b32_e32 v10, 2, v59
	v_lshrrev_b32_e32 v11, v61, v83
	v_and_or_b32 v17, 0x8000, v24, v21
	v_and_or_b32 v18, 0x8000, v29, v23
	v_cndmask_b32_e32 v12, v57, v30, vcc_lo
	v_cmp_eq_u32_e32 vcc_lo, 3, v72
	v_lshlrev_b32_e32 v16, v61, v11
	v_and_b32_e32 v17, 0xffff, v17
	v_and_or_b32 v0, 0x8000, v31, v12
	s_or_b32 vcc_lo, vcc_lo, s17
	v_lshrrev_b32_e32 v12, 16, v1
	v_add_co_ci_u32_e32 v10, vcc_lo, 0, v10, vcc_lo
	v_cmp_ne_u32_e32 vcc_lo, 0, v32
	v_lshl_or_b32 v15, v18, 16, v17
	s_waitcnt vmcnt(3)
	v_mul_f16_sdwa v13, v12, v9 dst_sel:DWORD dst_unused:UNUSED_PAD src0_sel:DWORD src1_sel:WORD_1
	v_add_nc_u32_e32 v17, 0xfffffc10, v62
	v_lshrrev_b32_e32 v18, 8, v3
	v_cndmask_b32_e64 v14, 0, 1, vcc_lo
	v_cmp_gt_i32_e32 vcc_lo, 31, v60
	v_fmac_f16_e32 v13, v1, v9
	global_store_dword v[44:45], v15, off
	v_lshrrev_b32_e32 v3, 16, v3
	v_lshl_or_b32 v14, v14, 9, 0x7c00
	v_cndmask_b32_e32 v10, 0x7c00, v10, vcc_lo
	v_cmp_ne_u32_e32 vcc_lo, v16, v83
	v_cvt_f32_f16_e32 v13, v13
	v_cndmask_b32_e64 v16, 0, 1, vcc_lo
	v_cmp_eq_u32_e32 vcc_lo, 0x40f, v60
	v_or_b32_e32 v16, v11, v16
	v_cndmask_b32_e32 v14, v10, v14, vcc_lo
	v_cmp_ne_u32_e32 vcc_lo, 0, v2
	v_cvt_f64_f32_e32 v[10:11], v13
	v_lshl_or_b32 v13, v17, 12, v34
	v_cndmask_b32_e64 v2, 0, 1, vcc_lo
	v_cmp_gt_i32_e32 vcc_lo, 1, v17
	v_cndmask_b32_e32 v13, v13, v16, vcc_lo
	v_and_or_b32 v16, 0xffe, v18, v2
	v_and_or_b32 v2, 0x8000, v19, v14
	v_sub_nc_u32_e32 v14, 0x3f1, v20
	v_and_b32_e32 v18, 0xffff, v0
	v_and_b32_e32 v19, 7, v13
	v_or_b32_e32 v21, 0x1000, v16
	v_lshrrev_b32_e32 v13, 2, v13
	v_med3_i32 v14, v14, 0, 13
	global_load_dword v0, v26, s[18:19] offset:1120
	v_cmp_lt_i32_e32 vcc_lo, 5, v19
	v_cmp_eq_u32_e64 s0, 3, v19
	v_mul_f16_sdwa v19, v1, v9 dst_sel:DWORD dst_unused:UNUSED_PAD src0_sel:DWORD src1_sel:WORD_1
	v_lshrrev_b32_e32 v15, v14, v21
	v_mul_f64 v[10:11], v[10:11], s[24:25]
	v_add_nc_u32_e32 v20, 0xfffffc10, v20
	s_or_b32 vcc_lo, s0, vcc_lo
	v_fma_f16 v9, v9, v12, -v19
	v_lshlrev_b32_e32 v12, v14, v15
	v_add_co_ci_u32_e32 v14, vcc_lo, 0, v13, vcc_lo
	v_add_co_u32 v1, s1, v44, s22
	v_cmp_ne_u32_e32 vcc_lo, v12, v21
	v_cvt_f32_f16_e32 v9, v9
	v_lshl_or_b32 v18, v2, 16, v18
	v_add_co_ci_u32_e64 v2, s1, s23, v45, s1
	v_cndmask_b32_e64 v19, 0, 1, vcc_lo
	v_cmp_ne_u32_e32 vcc_lo, 0, v34
	v_cvt_f64_f32_e32 v[12:13], v9
	v_or_b32_e32 v9, v15, v19
	v_cndmask_b32_e64 v21, 0, 1, vcc_lo
	v_cmp_gt_i32_e32 vcc_lo, 31, v17
	v_lshl_or_b32 v15, v20, 12, v16
	v_lshrrev_b32_e32 v22, 8, v11
	v_bfe_u32 v23, v11, 20, 11
	v_lshl_or_b32 v19, v21, 9, 0x7c00
	v_cndmask_b32_e32 v14, 0x7c00, v14, vcc_lo
	v_cmp_gt_i32_e32 vcc_lo, 1, v20
	v_and_or_b32 v21, 0x1ff, v11, v10
	v_lshrrev_b32_e32 v11, 16, v11
	v_cndmask_b32_e32 v15, v15, v9, vcc_lo
	v_cmp_eq_u32_e32 vcc_lo, 0x40f, v17
	ds_read2_b32 v[9:10], v26 offset0:196 offset1:224
	v_lshrrev_b32_e32 v17, 16, v35
	s_clause 0x1
	global_load_dword v28, v26, s[18:19] offset:1232
	global_load_dword v29, v26, s[18:19] offset:1344
	global_store_dword v[1:2], v18, off
	v_cndmask_b32_e32 v14, v14, v19, vcc_lo
	v_cmp_ne_u32_e32 vcc_lo, 0, v21
	v_and_b32_e32 v19, 7, v15
	v_lshrrev_b32_e32 v15, 2, v15
	v_mul_f64 v[12:13], v[12:13], s[24:25]
	v_and_or_b32 v17, 0x8000, v17, v14
	v_cndmask_b32_e64 v21, 0, 1, vcc_lo
	v_cmp_lt_i32_e32 vcc_lo, 5, v19
	v_cmp_eq_u32_e64 s0, 3, v19
	v_and_or_b32 v19, 0xffe, v22, v21
	v_sub_nc_u32_e32 v21, 0x3f1, v23
	s_or_b32 vcc_lo, s0, vcc_lo
	v_add_co_ci_u32_e32 v15, vcc_lo, 0, v15, vcc_lo
	v_cmp_ne_u32_e32 vcc_lo, 0, v16
	v_or_b32_e32 v22, 0x1000, v19
	v_med3_i32 v21, v21, 0, 13
	s_waitcnt lgkmcnt(0)
	v_lshrrev_b32_e32 v24, 16, v9
	v_cndmask_b32_e64 v16, 0, 1, vcc_lo
	v_cmp_gt_i32_e32 vcc_lo, 31, v20
	v_lshrrev_b32_e32 v25, v21, v22
	s_waitcnt vmcnt(5)
	v_mul_f16_sdwa v30, v24, v7 dst_sel:DWORD dst_unused:UNUSED_PAD src0_sel:DWORD src1_sel:WORD_1
	v_and_or_b32 v12, 0x1ff, v13, v12
	v_lshl_or_b32 v16, v16, 9, 0x7c00
	v_cndmask_b32_e32 v15, 0x7c00, v15, vcc_lo
	v_lshlrev_b32_e32 v14, v21, v25
	v_cmp_eq_u32_e32 vcc_lo, 0x40f, v20
	v_fmac_f16_e32 v30, v9, v7
	v_add_nc_u32_e32 v20, 0xfffffc10, v23
	v_lshrrev_b32_e32 v21, 8, v13
	v_mul_f16_sdwa v9, v9, v7 dst_sel:DWORD dst_unused:UNUSED_PAD src0_sel:DWORD src1_sel:WORD_1
	v_cndmask_b32_e32 v16, v15, v16, vcc_lo
	v_cmp_ne_u32_e32 vcc_lo, v14, v22
	v_cvt_f32_f16_e32 v15, v30
	v_bfe_u32 v22, v13, 20, 11
	v_fma_f16 v7, v7, v24, -v9
	v_and_or_b32 v3, 0x8000, v3, v16
	v_cndmask_b32_e64 v14, 0, 1, vcc_lo
	v_cmp_ne_u32_e32 vcc_lo, 0, v12
	v_and_b32_e32 v16, 0xffff, v17
	v_cvt_f32_f16_e32 v7, v7
	v_or_b32_e32 v23, v25, v14
	v_cvt_f64_f32_e32 v[14:15], v15
	v_cndmask_b32_e64 v12, 0, 1, vcc_lo
	v_lshl_or_b32 v25, v20, 12, v19
	v_cmp_gt_i32_e32 vcc_lo, 1, v20
	v_lshl_or_b32 v3, v3, 16, v16
	v_and_or_b32 v12, 0xffe, v21, v12
	v_sub_nc_u32_e32 v21, 0x3f1, v22
	v_cndmask_b32_e32 v23, v25, v23, vcc_lo
	v_or_b32_e32 v25, 0x1000, v12
	v_med3_i32 v21, v21, 0, 13
	v_and_b32_e32 v17, 7, v23
	v_lshrrev_b32_e32 v18, 2, v23
	v_lshrrev_b32_e32 v30, v21, v25
	v_cmp_lt_i32_e32 vcc_lo, 5, v17
	v_cmp_eq_u32_e64 s0, 3, v17
	v_cvt_f64_f32_e32 v[16:17], v7
	v_add_nc_u32_e32 v7, 0xfffffc10, v22
	v_mul_f64 v[14:15], v[14:15], s[24:25]
	v_lshlrev_b32_e32 v9, v21, v30
	s_or_b32 vcc_lo, s0, vcc_lo
	v_lshrrev_b32_e32 v22, 16, v10
	v_add_co_ci_u32_e32 v18, vcc_lo, 0, v18, vcc_lo
	v_cmp_ne_u32_e64 s1, v9, v25
	v_cmp_ne_u32_e32 vcc_lo, 0, v19
	v_lshl_or_b32 v21, v7, 12, v12
	v_cndmask_b32_e64 v9, 0, 1, s1
	v_cndmask_b32_e64 v19, 0, 1, vcc_lo
	v_cmp_gt_i32_e32 vcc_lo, 31, v20
	v_or_b32_e32 v9, v30, v9
	v_lshl_or_b32 v19, v19, 9, 0x7c00
	v_cndmask_b32_e32 v18, 0x7c00, v18, vcc_lo
	v_cmp_gt_i32_e32 vcc_lo, 1, v7
	v_mul_f64 v[16:17], v[16:17], s[24:25]
	v_and_or_b32 v14, 0x1ff, v15, v14
	v_cndmask_b32_e32 v9, v21, v9, vcc_lo
	v_add_co_u32 v1, vcc_lo, v1, s22
	v_add_co_ci_u32_e32 v2, vcc_lo, s23, v2, vcc_lo
	v_and_b32_e32 v21, 7, v9
	v_cmp_eq_u32_e32 vcc_lo, 0x40f, v20
	v_cmp_ne_u32_e64 s0, 0, v14
	v_lshrrev_b32_e32 v9, 2, v9
	v_bfe_u32 v20, v15, 20, 11
	global_store_dword v[1:2], v3, off
	v_cndmask_b32_e32 v18, v18, v19, vcc_lo
	v_cmp_lt_i32_e32 vcc_lo, 5, v21
	v_cndmask_b32_e64 v14, 0, 1, s0
	v_cmp_eq_u32_e64 s0, 3, v21
	v_lshrrev_b32_e32 v19, 8, v15
	v_and_or_b32 v18, 0x8000, v11, v18
	s_waitcnt vmcnt(4)
	v_mul_f16_sdwa v11, v22, v6 dst_sel:DWORD dst_unused:UNUSED_PAD src0_sel:DWORD src1_sel:WORD_1
	v_and_or_b32 v16, 0x1ff, v17, v16
	s_or_b32 vcc_lo, s0, vcc_lo
	v_and_or_b32 v14, 0xffe, v19, v14
	v_add_co_ci_u32_e32 v9, vcc_lo, 0, v9, vcc_lo
	v_sub_nc_u32_e32 v19, 0x3f1, v20
	v_cmp_gt_i32_e32 vcc_lo, 31, v7
	v_or_b32_e32 v21, 0x1000, v14
	v_fmac_f16_e32 v11, v10, v6
	v_bfe_u32 v25, v17, 20, 11
	v_med3_i32 v19, v19, 0, 13
	v_cndmask_b32_e32 v9, 0x7c00, v9, vcc_lo
	v_cmp_ne_u32_e32 vcc_lo, 0, v12
	v_cvt_f32_f16_e32 v11, v11
	v_add_nc_u32_e32 v20, 0xfffffc10, v20
	v_lshrrev_b32_e32 v23, v19, v21
	v_and_b32_e32 v18, 0xffff, v18
	v_cndmask_b32_e64 v24, 0, 1, vcc_lo
	v_cmp_ne_u32_e32 vcc_lo, 0, v16
	v_lshlrev_b32_e32 v12, v19, v23
	v_lshrrev_b32_e32 v19, 8, v17
	v_lshl_or_b32 v24, v24, 9, 0x7c00
	v_cndmask_b32_e64 v16, 0, 1, vcc_lo
	v_cmp_ne_u32_e32 vcc_lo, v12, v21
	v_cvt_f64_f32_e32 v[11:12], v11
	v_and_or_b32 v16, 0xffe, v19, v16
	v_sub_nc_u32_e32 v19, 0x3f1, v25
	v_cndmask_b32_e64 v21, 0, 1, vcc_lo
	v_cmp_eq_u32_e32 vcc_lo, 0x40f, v7
	v_or_b32_e32 v30, 0x1000, v16
	v_med3_i32 v19, v19, 0, 13
	v_or_b32_e32 v21, v23, v21
	v_cndmask_b32_e32 v7, v9, v24, vcc_lo
	v_lshl_or_b32 v23, v20, 12, v14
	v_cmp_gt_i32_e32 vcc_lo, 1, v20
	v_lshrrev_b32_e32 v24, v19, v30
	v_lshrrev_b32_e32 v9, 16, v13
	v_cndmask_b32_e32 v13, v23, v21, vcc_lo
	v_lshlrev_b32_e32 v3, v19, v24
	v_and_or_b32 v19, 0x8000, v9, v7
	v_add_nc_u32_e32 v23, 0xfffffc10, v25
	v_mul_f16_sdwa v21, v10, v6 dst_sel:DWORD dst_unused:UNUSED_PAD src0_sel:DWORD src1_sel:WORD_1
	v_and_b32_e32 v7, 7, v13
	v_cmp_ne_u32_e32 vcc_lo, v3, v30
	v_mul_f64 v[9:10], v[11:12], s[24:25]
	v_lshl_or_b32 v11, v23, 12, v16
	v_cmp_gt_i32_e64 s1, 1, v23
	v_cmp_eq_u32_e64 s0, 3, v7
	v_cndmask_b32_e64 v3, 0, 1, vcc_lo
	v_cmp_lt_i32_e32 vcc_lo, 5, v7
	v_lshrrev_b32_e32 v7, 2, v13
	v_fma_f16 v6, v6, v22, -v21
	v_lshl_or_b32 v18, v19, 16, v18
	v_or_b32_e32 v3, v24, v3
	s_or_b32 vcc_lo, s0, vcc_lo
	v_cvt_f32_f16_e32 v6, v6
	v_cndmask_b32_e64 v3, v11, v3, s1
	v_add_co_ci_u32_e32 v11, vcc_lo, 0, v7, vcc_lo
	v_cmp_ne_u32_e32 vcc_lo, 0, v14
	v_cvt_f64_f32_e32 v[6:7], v6
	v_and_b32_e32 v12, 7, v3
	v_lshrrev_b32_e32 v3, 2, v3
	v_cndmask_b32_e64 v13, 0, 1, vcc_lo
	v_cmp_gt_i32_e32 vcc_lo, 31, v20
	v_cmp_eq_u32_e64 s0, 3, v12
	v_and_or_b32 v9, 0x1ff, v10, v9
	v_lshrrev_b32_e32 v21, 8, v10
	v_bfe_u32 v22, v10, 20, 11
	v_cndmask_b32_e32 v14, 0x7c00, v11, vcc_lo
	v_cmp_lt_i32_e32 vcc_lo, 5, v12
	v_add_nc_u32_e32 v11, 0x200, v26
	v_lshl_or_b32 v13, v13, 9, 0x7c00
	v_add_nc_u32_e32 v19, 0xfffffc10, v22
	v_lshrrev_b32_e32 v10, 16, v10
	s_or_b32 vcc_lo, s0, vcc_lo
	ds_read2_b32 v[11:12], v11 offset0:124 offset1:152
	v_add_co_ci_u32_e32 v3, vcc_lo, 0, v3, vcc_lo
	v_cmp_ne_u32_e32 vcc_lo, 0, v9
	v_mul_f64 v[6:7], v[6:7], s[24:25]
	v_cndmask_b32_e64 v9, 0, 1, vcc_lo
	v_cmp_ne_u32_e32 vcc_lo, 0, v16
	v_and_or_b32 v9, 0xffe, v21, v9
	v_cndmask_b32_e64 v16, 0, 1, vcc_lo
	v_cmp_gt_i32_e32 vcc_lo, 31, v23
	v_sub_nc_u32_e32 v21, 0x3f1, v22
	v_or_b32_e32 v24, 0x1000, v9
	v_lshl_or_b32 v16, v16, 9, 0x7c00
	v_cndmask_b32_e32 v3, 0x7c00, v3, vcc_lo
	v_cmp_eq_u32_e32 vcc_lo, 0x40f, v20
	v_med3_i32 v21, v21, 0, 13
	v_lshl_or_b32 v22, v19, 12, v9
	v_cndmask_b32_e32 v13, v14, v13, vcc_lo
	v_lshrrev_b32_e32 v14, 16, v15
	v_cmp_eq_u32_e32 vcc_lo, 0x40f, v23
	v_lshrrev_b32_e32 v15, v21, v24
	v_and_or_b32 v6, 0x1ff, v7, v6
	v_lshrrev_b32_e32 v20, 8, v7
	v_and_or_b32 v13, 0x8000, v14, v13
	v_cndmask_b32_e32 v3, v3, v16, vcc_lo
	v_lshrrev_b32_e32 v16, 16, v17
	s_waitcnt lgkmcnt(0)
	v_lshrrev_b32_e32 v17, 16, v11
	v_lshlrev_b32_e32 v14, v21, v15
	v_bfe_u32 v21, v7, 20, 11
	v_and_or_b32 v3, 0x8000, v16, v3
	v_and_b32_e32 v16, 0xffff, v13
	s_waitcnt vmcnt(3)
	v_mul_f16_sdwa v13, v17, v8 dst_sel:DWORD dst_unused:UNUSED_PAD src0_sel:DWORD src1_sel:WORD_1
	v_cmp_ne_u32_e32 vcc_lo, v14, v24
	v_lshl_or_b32 v3, v3, 16, v16
	v_fmac_f16_e32 v13, v11, v8
	v_cndmask_b32_e64 v14, 0, 1, vcc_lo
	v_cmp_ne_u32_e32 vcc_lo, 0, v6
	v_mul_f16_sdwa v11, v11, v8 dst_sel:DWORD dst_unused:UNUSED_PAD src0_sel:DWORD src1_sel:WORD_1
	v_cvt_f32_f16_e32 v13, v13
	v_or_b32_e32 v15, v15, v14
	v_cndmask_b32_e64 v6, 0, 1, vcc_lo
	v_cmp_gt_i32_e32 vcc_lo, 1, v19
	v_fma_f16 v8, v8, v17, -v11
	v_cvt_f64_f32_e32 v[13:14], v13
	v_add_nc_u32_e32 v11, 0xfffffc10, v21
	v_and_or_b32 v6, 0xffe, v20, v6
	v_sub_nc_u32_e32 v20, 0x3f1, v21
	v_cndmask_b32_e32 v22, v22, v15, vcc_lo
	v_add_co_u32 v1, vcc_lo, v1, s22
	v_or_b32_e32 v23, 0x1000, v6
	v_med3_i32 v20, v20, 0, 13
	v_add_co_ci_u32_e32 v2, vcc_lo, s23, v2, vcc_lo
	v_and_b32_e32 v24, 7, v22
	v_add_co_u32 v15, vcc_lo, v1, s22
	v_lshrrev_b32_e32 v25, v20, v23
	v_add_co_ci_u32_e32 v16, vcc_lo, s23, v2, vcc_lo
	v_cmp_lt_i32_e32 vcc_lo, 5, v24
	v_cmp_eq_u32_e64 s0, 3, v24
	v_lshlrev_b32_e32 v20, v20, v25
	v_lshrrev_b32_e32 v22, 2, v22
	v_cvt_f32_f16_e32 v8, v8
	v_mul_f64 v[13:14], v[13:14], s[24:25]
	s_or_b32 vcc_lo, s0, vcc_lo
	v_cmp_ne_u32_e64 s1, v20, v23
	v_add_co_ci_u32_e32 v17, vcc_lo, 0, v22, vcc_lo
	v_cmp_ne_u32_e32 vcc_lo, 0, v9
	v_lshl_or_b32 v21, v11, 12, v6
	v_cndmask_b32_e64 v20, 0, 1, s1
	v_cvt_f64_f32_e32 v[8:9], v8
	global_store_dword v[1:2], v18, off
	global_store_dword v[15:16], v3, off
	v_cndmask_b32_e64 v22, 0, 1, vcc_lo
	v_cmp_gt_i32_e32 vcc_lo, 1, v11
	v_or_b32_e32 v20, v25, v20
	v_cndmask_b32_e32 v20, v21, v20, vcc_lo
	v_cmp_gt_i32_e32 vcc_lo, 31, v19
	v_lshl_or_b32 v21, v22, 9, 0x7c00
	v_and_or_b32 v2, 0x1ff, v14, v13
	v_cndmask_b32_e32 v17, 0x7c00, v17, vcc_lo
	v_and_b32_e32 v1, 7, v20
	v_cmp_eq_u32_e32 vcc_lo, 0x40f, v19
	v_bfe_u32 v18, v14, 20, 11
	v_cmp_ne_u32_e64 s1, 0, v2
	v_cmp_eq_u32_e64 s0, 3, v1
	v_cndmask_b32_e32 v3, v17, v21, vcc_lo
	v_cmp_lt_i32_e32 vcc_lo, 5, v1
	v_lshrrev_b32_e32 v1, 2, v20
	v_cndmask_b32_e64 v13, 0, 1, s1
	v_lshrrev_b32_e32 v17, 8, v14
	v_and_or_b32 v3, 0x8000, v10, v3
	s_or_b32 vcc_lo, s0, vcc_lo
	v_lshrrev_b32_e32 v21, 16, v7
	v_add_co_ci_u32_e32 v19, vcc_lo, 0, v1, vcc_lo
	v_mul_f64 v[1:2], v[8:9], s[24:25]
	v_and_or_b32 v13, 0xffe, v17, v13
	v_sub_nc_u32_e32 v8, 0x3f1, v18
	v_cmp_ne_u32_e32 vcc_lo, 0, v6
	v_lshrrev_b32_e32 v17, 16, v12
	v_add_nc_u32_e32 v18, 0xfffffc10, v18
	v_or_b32_e32 v20, 0x1000, v13
	v_med3_i32 v8, v8, 0, 13
	v_cndmask_b32_e64 v6, 0, 1, vcc_lo
	v_cmp_gt_i32_e32 vcc_lo, 31, v11
	s_waitcnt vmcnt(2)
	v_mul_f16_sdwa v9, v17, v0 dst_sel:DWORD dst_unused:UNUSED_PAD src0_sel:DWORD src1_sel:WORD_1
	v_and_b32_e32 v3, 0xffff, v3
	v_lshrrev_b32_e32 v10, v8, v20
	v_lshl_or_b32 v6, v6, 9, 0x7c00
	v_cndmask_b32_e32 v19, 0x7c00, v19, vcc_lo
	v_cmp_eq_u32_e32 vcc_lo, 0x40f, v11
	v_fmac_f16_e32 v9, v12, v0
	v_lshlrev_b32_e32 v11, v8, v10
	v_mul_f16_sdwa v12, v12, v0 dst_sel:DWORD dst_unused:UNUSED_PAD src0_sel:DWORD src1_sel:WORD_1
	v_lshrrev_b32_e32 v14, 16, v14
	v_cndmask_b32_e32 v19, v19, v6, vcc_lo
	v_cvt_f32_f16_e32 v9, v9
	v_and_or_b32 v1, 0x1ff, v2, v1
	v_cmp_ne_u32_e32 vcc_lo, v11, v20
	v_mad_u64_u32 v[6:7], null, s20, v27, 0
	v_cvt_f64_f32_e32 v[8:9], v9
	v_lshrrev_b32_e32 v22, 8, v2
	v_cndmask_b32_e64 v11, 0, 1, vcc_lo
	v_cmp_ne_u32_e32 vcc_lo, 0, v1
	v_bfe_u32 v23, v2, 20, 11
	v_and_or_b32 v19, 0x8000, v21, v19
	v_mov_b32_e32 v1, v7
	v_or_b32_e32 v10, v10, v11
	v_cndmask_b32_e64 v20, 0, 1, vcc_lo
	v_lshl_or_b32 v11, v18, 12, v13
	v_cmp_gt_i32_e32 vcc_lo, 1, v18
	v_sub_nc_u32_e32 v7, 0x3f1, v23
	v_lshl_or_b32 v19, v19, 16, v3
	v_and_or_b32 v20, 0xffe, v22, v20
	v_cndmask_b32_e32 v22, v11, v10, vcc_lo
	v_mad_u64_u32 v[10:11], null, s21, v27, v[1:2]
	v_or_b32_e32 v1, 0x1000, v20
	v_med3_i32 v11, v7, 0, 13
	v_and_b32_e32 v7, 7, v22
	v_mul_f64 v[8:9], v[8:9], s[24:25]
	v_lshrrev_b32_e32 v21, v11, v1
	v_cmp_lt_i32_e32 vcc_lo, 5, v7
	v_cmp_eq_u32_e64 s0, 3, v7
	v_mov_b32_e32 v7, v10
	v_lshrrev_b32_e32 v10, 2, v22
	v_lshlrev_b32_e32 v11, v11, v21
	v_add_nc_u32_e32 v22, 0xfffffc10, v23
	s_or_b32 vcc_lo, s0, vcc_lo
	v_lshlrev_b64 v[6:7], 2, v[6:7]
	v_add_co_ci_u32_e32 v3, vcc_lo, 0, v10, vcc_lo
	v_cmp_ne_u32_e32 vcc_lo, v11, v1
	v_lshl_or_b32 v11, v22, 12, v20
	v_cndmask_b32_e64 v1, 0, 1, vcc_lo
	v_cmp_gt_i32_e32 vcc_lo, 31, v18
	v_and_or_b32 v8, 0x1ff, v9, v8
	v_or_b32_e32 v1, v21, v1
	v_cndmask_b32_e32 v3, 0x7c00, v3, vcc_lo
	v_cmp_ne_u32_e32 vcc_lo, 0, v13
	v_add_nc_u32_e32 v13, 0x400, v26
	v_cndmask_b32_e64 v10, 0, 1, vcc_lo
	v_cmp_gt_i32_e32 vcc_lo, 1, v22
	v_cndmask_b32_e32 v21, v11, v1, vcc_lo
	v_fma_f16 v11, v0, v17, -v12
	v_cmp_ne_u32_e32 vcc_lo, 0, v8
	ds_read2_b32 v[0:1], v13 offset0:52 offset1:80
	v_lshl_or_b32 v17, v10, 9, 0x7c00
	v_lshrrev_b32_e32 v12, 8, v9
	v_cvt_f32_f16_e32 v11, v11
	v_cndmask_b32_e64 v8, 0, 1, vcc_lo
	v_cmp_eq_u32_e32 vcc_lo, 0x40f, v18
	v_bfe_u32 v13, v9, 20, 11
	v_and_b32_e32 v23, 7, v21
	v_cvt_f64_f32_e32 v[10:11], v11
	v_and_or_b32 v8, 0xffe, v12, v8
	v_cndmask_b32_e32 v3, v3, v17, vcc_lo
	v_sub_nc_u32_e32 v12, 0x3f1, v13
	v_cmp_lt_i32_e32 vcc_lo, 5, v23
	v_cmp_eq_u32_e64 s0, 3, v23
	v_or_b32_e32 v17, 0x1000, v8
	v_and_or_b32 v14, 0x8000, v14, v3
	v_lshrrev_b32_e32 v3, 2, v21
	v_med3_i32 v12, v12, 0, 13
	s_or_b32 vcc_lo, s0, vcc_lo
	v_add_nc_u32_e32 v13, 0xfffffc10, v13
	s_waitcnt lgkmcnt(0)
	v_lshrrev_b32_e32 v21, 16, v0
	v_add_co_ci_u32_e32 v3, vcc_lo, 0, v3, vcc_lo
	v_lshrrev_b32_e32 v18, v12, v17
	v_cmp_ne_u32_e32 vcc_lo, 0, v20
	s_waitcnt vmcnt(1)
	v_mul_f16_sdwa v23, v21, v28 dst_sel:DWORD dst_unused:UNUSED_PAD src0_sel:DWORD src1_sel:WORD_1
	v_and_b32_e32 v14, 0xffff, v14
	v_lshlrev_b32_e32 v12, v12, v18
	v_cndmask_b32_e64 v20, 0, 1, vcc_lo
	v_cmp_gt_i32_e32 vcc_lo, 31, v22
	v_mul_f64 v[10:11], v[10:11], s[24:25]
	v_fmac_f16_e32 v23, v0, v28
	v_mul_f16_sdwa v0, v0, v28 dst_sel:DWORD dst_unused:UNUSED_PAD src0_sel:DWORD src1_sel:WORD_1
	v_lshl_or_b32 v20, v20, 9, 0x7c00
	v_cndmask_b32_e32 v3, 0x7c00, v3, vcc_lo
	v_cmp_ne_u32_e32 vcc_lo, v12, v17
	v_cvt_f32_f16_e32 v17, v23
	v_fma_f16 v0, v28, v21, -v0
	v_cndmask_b32_e64 v12, 0, 1, vcc_lo
	v_cmp_eq_u32_e32 vcc_lo, 0x40f, v22
	v_lshrrev_b32_e32 v22, 16, v2
	v_cvt_f32_f16_e32 v0, v0
	v_or_b32_e32 v12, v18, v12
	v_cndmask_b32_e32 v20, v3, v20, vcc_lo
	v_cvt_f64_f32_e32 v[2:3], v17
	v_lshl_or_b32 v18, v13, 12, v8
	v_cmp_gt_i32_e32 vcc_lo, 1, v13
	v_and_or_b32 v17, 0x8000, v22, v20
	v_and_or_b32 v10, 0x1ff, v11, v10
	v_cndmask_b32_e32 v12, v18, v12, vcc_lo
	v_add_co_u32 v4, vcc_lo, v4, v6
	v_cmp_ne_u32_e64 s0, 0, v10
	v_add_co_ci_u32_e32 v5, vcc_lo, v5, v7, vcc_lo
	v_and_b32_e32 v18, 7, v12
	v_mad_u64_u32 v[6:7], null, 0xe0, s20, v[15:16]
	v_cndmask_b32_e64 v10, 0, 1, s0
	v_lshrrev_b32_e32 v15, 8, v11
	v_bfe_u32 v16, v11, 20, 11
	v_cmp_lt_i32_e32 vcc_lo, 5, v18
	v_cmp_eq_u32_e64 s0, 3, v18
	v_lshrrev_b32_e32 v12, 2, v12
	v_mul_f64 v[2:3], v[2:3], s[24:25]
	v_and_or_b32 v10, 0xffe, v15, v10
	v_sub_nc_u32_e32 v15, 0x3f1, v16
	s_or_b32 vcc_lo, s0, vcc_lo
	v_lshl_or_b32 v14, v17, 16, v14
	v_add_co_ci_u32_e32 v12, vcc_lo, 0, v12, vcc_lo
	v_cmp_ne_u32_e32 vcc_lo, 0, v8
	v_or_b32_e32 v17, 0x1000, v10
	v_med3_i32 v15, v15, 0, 13
	v_add_nc_u32_e32 v16, 0xfffffc10, v16
	v_cndmask_b32_e64 v8, 0, 1, vcc_lo
	v_cmp_gt_i32_e32 vcc_lo, 31, v13
	v_lshrrev_b32_e32 v18, v15, v17
	v_lshl_or_b32 v20, v8, 9, 0x7c00
	v_mad_u64_u32 v[7:8], null, 0xe0, s21, v[7:8]
	v_cndmask_b32_e32 v12, 0x7c00, v12, vcc_lo
	v_lshlrev_b32_e32 v8, v15, v18
	v_cmp_eq_u32_e32 vcc_lo, 0x40f, v13
	v_and_or_b32 v2, 0x1ff, v3, v2
	v_cndmask_b32_e32 v15, v12, v20, vcc_lo
	v_cmp_ne_u32_e32 vcc_lo, v8, v17
	v_lshrrev_b32_e32 v17, 8, v3
	v_bfe_u32 v20, v3, 20, 11
	v_cvt_f64_f32_e32 v[12:13], v0
	v_lshrrev_b32_e32 v3, 16, v3
	v_cndmask_b32_e64 v8, 0, 1, vcc_lo
	v_cmp_ne_u32_e32 vcc_lo, 0, v2
	v_or_b32_e32 v0, v18, v8
	v_cndmask_b32_e64 v2, 0, 1, vcc_lo
	v_lshl_or_b32 v8, v16, 12, v10
	v_cmp_gt_i32_e32 vcc_lo, 1, v16
	v_lshrrev_b32_e32 v18, 16, v1
	v_and_or_b32 v2, 0xffe, v17, v2
	v_sub_nc_u32_e32 v17, 0x3f1, v20
	v_cndmask_b32_e32 v0, v8, v0, vcc_lo
	v_lshrrev_b32_e32 v8, 16, v9
	v_add_nc_u32_e32 v20, 0xfffffc10, v20
	v_or_b32_e32 v21, 0x1000, v2
	v_med3_i32 v9, v17, 0, 13
	v_and_b32_e32 v22, 7, v0
	s_waitcnt vmcnt(0)
	v_mul_f16_sdwa v17, v18, v29 dst_sel:DWORD dst_unused:UNUSED_PAD src0_sel:DWORD src1_sel:WORD_1
	v_lshrrev_b32_e32 v0, 2, v0
	v_and_or_b32 v15, 0x8000, v8, v15
	v_lshrrev_b32_e32 v23, v9, v21
	v_cmp_lt_i32_e32 vcc_lo, 5, v22
	v_cmp_eq_u32_e64 s0, 3, v22
	v_fmac_f16_e32 v17, v1, v29
	v_mul_f16_sdwa v1, v1, v29 dst_sel:DWORD dst_unused:UNUSED_PAD src0_sel:DWORD src1_sel:WORD_1
	v_lshlrev_b32_e32 v22, v9, v23
	v_mul_f64 v[8:9], v[12:13], s[24:25]
	s_or_b32 vcc_lo, s0, vcc_lo
	v_cvt_f32_f16_e32 v17, v17
	v_add_co_ci_u32_e32 v0, vcc_lo, 0, v0, vcc_lo
	v_cmp_ne_u32_e32 vcc_lo, v22, v21
	v_lshl_or_b32 v21, v20, 12, v2
	v_cvt_f64_f32_e32 v[12:13], v17
	v_fma_f16 v1, v29, v18, -v1
	v_lshrrev_b32_e32 v18, 16, v11
	v_cndmask_b32_e64 v17, 0, 1, vcc_lo
	v_cmp_ne_u32_e32 vcc_lo, 0, v10
	v_and_b32_e32 v15, 0xffff, v15
	v_cvt_f32_f16_e32 v1, v1
	v_or_b32_e32 v17, v23, v17
	v_cndmask_b32_e64 v10, 0, 1, vcc_lo
	v_cmp_gt_i32_e32 vcc_lo, 31, v16
	v_lshl_or_b32 v10, v10, 9, 0x7c00
	v_cndmask_b32_e32 v0, 0x7c00, v0, vcc_lo
	v_cmp_gt_i32_e32 vcc_lo, 1, v20
	v_and_or_b32 v8, 0x1ff, v9, v8
	v_cndmask_b32_e32 v17, v21, v17, vcc_lo
	v_cmp_eq_u32_e32 vcc_lo, 0x40f, v16
	v_and_b32_e32 v21, 7, v17
	v_cndmask_b32_e32 v16, v0, v10, vcc_lo
	v_mul_f64 v[10:11], v[12:13], s[24:25]
	v_cvt_f64_f32_e32 v[0:1], v1
	v_cmp_ne_u32_e32 vcc_lo, 0, v8
	v_lshrrev_b32_e32 v12, 8, v9
	v_and_or_b32 v16, 0x8000, v18, v16
	v_bfe_u32 v13, v9, 20, 11
	v_cmp_eq_u32_e64 s0, 3, v21
	v_cndmask_b32_e64 v8, 0, 1, vcc_lo
	v_cmp_lt_i32_e32 vcc_lo, 5, v21
	v_lshl_or_b32 v15, v16, 16, v15
	v_lshrrev_b32_e32 v16, 2, v17
	v_lshrrev_b32_e32 v9, 16, v9
	v_and_or_b32 v8, 0xffe, v12, v8
	v_sub_nc_u32_e32 v12, 0x3f1, v13
	s_or_b32 vcc_lo, s0, vcc_lo
	v_add_nc_u32_e32 v13, 0xfffffc10, v13
	v_add_co_ci_u32_e32 v16, vcc_lo, 0, v16, vcc_lo
	v_or_b32_e32 v17, 0x1000, v8
	v_med3_i32 v12, v12, 0, 13
	v_cmp_ne_u32_e32 vcc_lo, 0, v2
	v_and_or_b32 v10, 0x1ff, v11, v10
	v_mul_f64 v[0:1], v[0:1], s[24:25]
	v_lshrrev_b32_e32 v18, v12, v17
	v_cndmask_b32_e64 v2, 0, 1, vcc_lo
	v_cmp_gt_i32_e32 vcc_lo, 31, v20
	v_lshrrev_b32_e32 v21, 8, v11
	v_bfe_u32 v22, v11, 20, 11
	v_lshlrev_b32_e32 v12, v12, v18
	v_lshl_or_b32 v2, v2, 9, 0x7c00
	v_cndmask_b32_e32 v16, 0x7c00, v16, vcc_lo
	v_cmp_ne_u32_e32 vcc_lo, 0, v10
	v_lshrrev_b32_e32 v11, 16, v11
	v_cndmask_b32_e64 v10, 0, 1, vcc_lo
	v_cmp_ne_u32_e32 vcc_lo, v12, v17
	v_sub_nc_u32_e32 v17, 0x3f1, v22
	v_and_or_b32 v10, 0xffe, v21, v10
	v_cndmask_b32_e64 v12, 0, 1, vcc_lo
	v_cmp_eq_u32_e32 vcc_lo, 0x40f, v20
	v_med3_i32 v17, v17, 0, 13
	v_and_or_b32 v0, 0x1ff, v1, v0
	v_lshrrev_b32_e32 v20, 8, v1
	v_or_b32_e32 v12, v18, v12
	v_cndmask_b32_e32 v2, v16, v2, vcc_lo
	v_lshl_or_b32 v16, v13, 12, v8
	v_or_b32_e32 v18, 0x1000, v10
	v_cmp_gt_i32_e32 vcc_lo, 1, v13
	v_bfe_u32 v21, v1, 20, 11
	v_and_or_b32 v2, 0x8000, v3, v2
	v_cndmask_b32_e32 v12, v16, v12, vcc_lo
	v_lshrrev_b32_e32 v16, v17, v18
	v_cmp_ne_u32_e32 vcc_lo, 0, v0
	v_sub_nc_u32_e32 v3, 0x3f1, v21
	v_and_b32_e32 v2, 0xffff, v2
	v_and_b32_e32 v23, 7, v12
	v_lshlrev_b32_e32 v17, v17, v16
	v_cndmask_b32_e64 v0, 0, 1, vcc_lo
	v_lshrrev_b32_e32 v12, 2, v12
	v_med3_i32 v3, v3, 0, 13
	v_cmp_lt_i32_e32 vcc_lo, 5, v23
	v_cmp_ne_u32_e64 s0, v17, v18
	v_and_or_b32 v0, 0xffe, v20, v0
	v_add_nc_u32_e32 v20, 0xfffffc10, v22
	v_cndmask_b32_e64 v17, 0, 1, s0
	v_cmp_eq_u32_e64 s0, 3, v23
	v_or_b32_e32 v18, 0x1000, v0
	v_lshl_or_b32 v22, v20, 12, v10
	v_or_b32_e32 v16, v16, v17
	s_or_b32 vcc_lo, s0, vcc_lo
	v_lshrrev_b32_e32 v17, v3, v18
	v_add_co_ci_u32_e32 v12, vcc_lo, 0, v12, vcc_lo
	v_cmp_gt_i32_e32 vcc_lo, 1, v20
	v_lshlrev_b32_e32 v3, v3, v17
	v_cndmask_b32_e32 v16, v22, v16, vcc_lo
	v_cmp_ne_u32_e32 vcc_lo, 0, v8
	v_cndmask_b32_e64 v8, 0, 1, vcc_lo
	v_cmp_ne_u32_e32 vcc_lo, v3, v18
	v_add_nc_u32_e32 v18, 0xfffffc10, v21
	v_and_b32_e32 v21, 7, v16
	v_lshl_or_b32 v8, v8, 9, 0x7c00
	v_cndmask_b32_e64 v3, 0, 1, vcc_lo
	v_cmp_gt_i32_e32 vcc_lo, 31, v13
	v_cmp_gt_i32_e64 s1, 1, v18
	v_cmp_eq_u32_e64 s0, 3, v21
	v_or_b32_e32 v3, v17, v3
	v_lshl_or_b32 v17, v18, 12, v0
	v_cndmask_b32_e32 v12, 0x7c00, v12, vcc_lo
	v_cmp_lt_i32_e32 vcc_lo, 5, v21
	v_cndmask_b32_e64 v3, v17, v3, s1
	v_cmp_eq_u32_e64 s1, 0x40f, v13
	s_or_b32 vcc_lo, s0, vcc_lo
	v_and_b32_e32 v13, 7, v3
	v_cndmask_b32_e64 v8, v12, v8, s1
	v_lshrrev_b32_e32 v12, 2, v16
	v_lshrrev_b32_e32 v3, 2, v3
	v_cmp_gt_i32_e64 s1, 31, v20
	v_cmp_eq_u32_e64 s0, 3, v13
	v_and_or_b32 v8, 0x8000, v9, v8
	v_add_co_ci_u32_e32 v12, vcc_lo, 0, v12, vcc_lo
	v_cmp_ne_u32_e32 vcc_lo, 0, v10
	v_cndmask_b32_e64 v12, 0x7c00, v12, s1
	v_cndmask_b32_e64 v10, 0, 1, vcc_lo
	v_cmp_lt_i32_e32 vcc_lo, 5, v13
	v_lshl_or_b32 v10, v10, 9, 0x7c00
	s_or_b32 vcc_lo, s0, vcc_lo
	v_add_co_ci_u32_e32 v3, vcc_lo, 0, v3, vcc_lo
	v_cmp_ne_u32_e32 vcc_lo, 0, v0
	v_cndmask_b32_e64 v0, 0, 1, vcc_lo
	v_cmp_eq_u32_e32 vcc_lo, 0x40f, v20
	v_lshl_or_b32 v0, v0, 9, 0x7c00
	v_cndmask_b32_e32 v10, v12, v10, vcc_lo
	v_cmp_gt_i32_e32 vcc_lo, 31, v18
	v_and_or_b32 v9, 0x8000, v11, v10
	v_cndmask_b32_e32 v3, 0x7c00, v3, vcc_lo
	v_cmp_eq_u32_e32 vcc_lo, 0x40f, v18
	v_lshrrev_b32_e32 v10, 16, v1
	v_lshl_or_b32 v11, v8, 16, v2
	v_and_b32_e32 v9, 0xffff, v9
	v_cndmask_b32_e32 v3, v3, v0, vcc_lo
	v_add_co_u32 v0, vcc_lo, v6, s22
	v_add_co_ci_u32_e32 v1, vcc_lo, s23, v7, vcc_lo
	v_and_or_b32 v8, 0x8000, v10, v3
	v_add_co_u32 v2, vcc_lo, v0, s22
	v_add_co_ci_u32_e32 v3, vcc_lo, s23, v1, vcc_lo
	v_lshl_or_b32 v10, v8, 16, v9
	v_add_co_u32 v8, vcc_lo, v2, s22
	v_add_co_ci_u32_e32 v9, vcc_lo, s23, v3, vcc_lo
	global_store_dword v[4:5], v19, off
	global_store_dword v[6:7], v14, off
	;; [unrolled: 1-line block ×5, first 2 shown]
.LBB0_23:
	s_endpgm
	.section	.rodata,"a",@progbits
	.p2align	6, 0x0
	.amdhsa_kernel bluestein_single_back_len364_dim1_half_op_CI_CI
		.amdhsa_group_segment_fixed_size 1456
		.amdhsa_private_segment_fixed_size 0
		.amdhsa_kernarg_size 104
		.amdhsa_user_sgpr_count 6
		.amdhsa_user_sgpr_private_segment_buffer 1
		.amdhsa_user_sgpr_dispatch_ptr 0
		.amdhsa_user_sgpr_queue_ptr 0
		.amdhsa_user_sgpr_kernarg_segment_ptr 1
		.amdhsa_user_sgpr_dispatch_id 0
		.amdhsa_user_sgpr_flat_scratch_init 0
		.amdhsa_user_sgpr_private_segment_size 0
		.amdhsa_wavefront_size32 1
		.amdhsa_uses_dynamic_stack 0
		.amdhsa_system_sgpr_private_segment_wavefront_offset 0
		.amdhsa_system_sgpr_workgroup_id_x 1
		.amdhsa_system_sgpr_workgroup_id_y 0
		.amdhsa_system_sgpr_workgroup_id_z 0
		.amdhsa_system_sgpr_workgroup_info 0
		.amdhsa_system_vgpr_workitem_id 0
		.amdhsa_next_free_vgpr 132
		.amdhsa_next_free_sgpr 26
		.amdhsa_reserve_vcc 1
		.amdhsa_reserve_flat_scratch 0
		.amdhsa_float_round_mode_32 0
		.amdhsa_float_round_mode_16_64 0
		.amdhsa_float_denorm_mode_32 3
		.amdhsa_float_denorm_mode_16_64 3
		.amdhsa_dx10_clamp 1
		.amdhsa_ieee_mode 1
		.amdhsa_fp16_overflow 0
		.amdhsa_workgroup_processor_mode 1
		.amdhsa_memory_ordered 1
		.amdhsa_forward_progress 0
		.amdhsa_shared_vgpr_count 0
		.amdhsa_exception_fp_ieee_invalid_op 0
		.amdhsa_exception_fp_denorm_src 0
		.amdhsa_exception_fp_ieee_div_zero 0
		.amdhsa_exception_fp_ieee_overflow 0
		.amdhsa_exception_fp_ieee_underflow 0
		.amdhsa_exception_fp_ieee_inexact 0
		.amdhsa_exception_int_div_zero 0
	.end_amdhsa_kernel
	.text
.Lfunc_end0:
	.size	bluestein_single_back_len364_dim1_half_op_CI_CI, .Lfunc_end0-bluestein_single_back_len364_dim1_half_op_CI_CI
                                        ; -- End function
	.section	.AMDGPU.csdata,"",@progbits
; Kernel info:
; codeLenInByte = 19076
; NumSgprs: 28
; NumVgprs: 132
; ScratchSize: 0
; MemoryBound: 0
; FloatMode: 240
; IeeeMode: 1
; LDSByteSize: 1456 bytes/workgroup (compile time only)
; SGPRBlocks: 3
; VGPRBlocks: 16
; NumSGPRsForWavesPerEU: 28
; NumVGPRsForWavesPerEU: 132
; Occupancy: 7
; WaveLimiterHint : 1
; COMPUTE_PGM_RSRC2:SCRATCH_EN: 0
; COMPUTE_PGM_RSRC2:USER_SGPR: 6
; COMPUTE_PGM_RSRC2:TRAP_HANDLER: 0
; COMPUTE_PGM_RSRC2:TGID_X_EN: 1
; COMPUTE_PGM_RSRC2:TGID_Y_EN: 0
; COMPUTE_PGM_RSRC2:TGID_Z_EN: 0
; COMPUTE_PGM_RSRC2:TIDIG_COMP_CNT: 0
	.text
	.p2alignl 6, 3214868480
	.fill 48, 4, 3214868480
	.type	__hip_cuid_e85c6ec05800b90d,@object ; @__hip_cuid_e85c6ec05800b90d
	.section	.bss,"aw",@nobits
	.globl	__hip_cuid_e85c6ec05800b90d
__hip_cuid_e85c6ec05800b90d:
	.byte	0                               ; 0x0
	.size	__hip_cuid_e85c6ec05800b90d, 1

	.ident	"AMD clang version 19.0.0git (https://github.com/RadeonOpenCompute/llvm-project roc-6.4.0 25133 c7fe45cf4b819c5991fe208aaa96edf142730f1d)"
	.section	".note.GNU-stack","",@progbits
	.addrsig
	.addrsig_sym __hip_cuid_e85c6ec05800b90d
	.amdgpu_metadata
---
amdhsa.kernels:
  - .args:
      - .actual_access:  read_only
        .address_space:  global
        .offset:         0
        .size:           8
        .value_kind:     global_buffer
      - .actual_access:  read_only
        .address_space:  global
        .offset:         8
        .size:           8
        .value_kind:     global_buffer
      - .actual_access:  read_only
        .address_space:  global
        .offset:         16
        .size:           8
        .value_kind:     global_buffer
      - .actual_access:  read_only
        .address_space:  global
        .offset:         24
        .size:           8
        .value_kind:     global_buffer
      - .actual_access:  read_only
        .address_space:  global
        .offset:         32
        .size:           8
        .value_kind:     global_buffer
      - .offset:         40
        .size:           8
        .value_kind:     by_value
      - .address_space:  global
        .offset:         48
        .size:           8
        .value_kind:     global_buffer
      - .address_space:  global
        .offset:         56
        .size:           8
        .value_kind:     global_buffer
      - .address_space:  global
        .offset:         64
        .size:           8
        .value_kind:     global_buffer
      - .address_space:  global
        .offset:         72
        .size:           8
        .value_kind:     global_buffer
      - .offset:         80
        .size:           4
        .value_kind:     by_value
      - .address_space:  global
        .offset:         88
        .size:           8
        .value_kind:     global_buffer
      - .address_space:  global
        .offset:         96
        .size:           8
        .value_kind:     global_buffer
    .group_segment_fixed_size: 1456
    .kernarg_segment_align: 8
    .kernarg_segment_size: 104
    .language:       OpenCL C
    .language_version:
      - 2
      - 0
    .max_flat_workgroup_size: 52
    .name:           bluestein_single_back_len364_dim1_half_op_CI_CI
    .private_segment_fixed_size: 0
    .sgpr_count:     28
    .sgpr_spill_count: 0
    .symbol:         bluestein_single_back_len364_dim1_half_op_CI_CI.kd
    .uniform_work_group_size: 1
    .uses_dynamic_stack: false
    .vgpr_count:     132
    .vgpr_spill_count: 0
    .wavefront_size: 32
    .workgroup_processor_mode: 1
amdhsa.target:   amdgcn-amd-amdhsa--gfx1030
amdhsa.version:
  - 1
  - 2
...

	.end_amdgpu_metadata
